;; amdgpu-corpus repo=ROCm/rocFFT kind=compiled arch=gfx1100 opt=O3
	.text
	.amdgcn_target "amdgcn-amd-amdhsa--gfx1100"
	.amdhsa_code_object_version 6
	.protected	bluestein_single_fwd_len975_dim1_dp_op_CI_CI ; -- Begin function bluestein_single_fwd_len975_dim1_dp_op_CI_CI
	.globl	bluestein_single_fwd_len975_dim1_dp_op_CI_CI
	.p2align	8
	.type	bluestein_single_fwd_len975_dim1_dp_op_CI_CI,@function
bluestein_single_fwd_len975_dim1_dp_op_CI_CI: ; @bluestein_single_fwd_len975_dim1_dp_op_CI_CI
; %bb.0:
	s_load_b128 s[16:19], s[0:1], 0x28
	v_mul_u32_u24_e32 v1, 0x691, v0
	s_mov_b32 s2, exec_lo
	s_delay_alu instid0(VALU_DEP_1) | instskip(NEXT) | instid1(VALU_DEP_1)
	v_lshrrev_b32_e32 v1, 16, v1
	v_mad_u64_u32 v[108:109], null, s15, 3, v[1:2]
	v_mov_b32_e32 v109, 0
	s_waitcnt lgkmcnt(0)
	s_delay_alu instid0(VALU_DEP_1)
	v_cmpx_gt_u64_e64 s[16:17], v[108:109]
	s_cbranch_execz .LBB0_23
; %bb.1:
	s_load_b128 s[4:7], s[0:1], 0x18
	v_mul_lo_u16 v1, v1, 39
	v_mul_hi_u32 v107, 0xaaaaaaab, v108
	s_mov_b32 s14, 0
	s_waitcnt lgkmcnt(0)
	s_load_b128 s[8:11], s[4:5], 0x0
	s_load_b64 s[2:3], s[0:1], 0x0
	v_sub_nc_u16 v2, v0, v1
	s_delay_alu instid0(VALU_DEP_2) | instskip(NEXT) | instid1(VALU_DEP_2)
	v_lshrrev_b32_e32 v107, 1, v107
	v_and_b32_e32 v8, 0xffff, v2
	s_delay_alu instid0(VALU_DEP_2) | instskip(SKIP_2) | instid1(VALU_DEP_3)
	v_lshl_add_u32 v107, v107, 1, v107
	s_waitcnt lgkmcnt(0)
	v_mad_u64_u32 v[0:1], null, s10, v108, 0
	v_mad_u64_u32 v[3:4], null, s8, v8, 0
	s_delay_alu instid0(VALU_DEP_2) | instskip(NEXT) | instid1(VALU_DEP_2)
	v_mad_u64_u32 v[5:6], null, s11, v108, v[1:2]
	v_dual_mov_b32 v1, v4 :: v_dual_lshlrev_b32 v238, 4, v8
	v_mov_b32_e32 v4, v8
	s_delay_alu instid0(VALU_DEP_2) | instskip(NEXT) | instid1(VALU_DEP_4)
	v_mad_u64_u32 v[6:7], null, s9, v8, v[1:2]
	v_mov_b32_e32 v1, v5
	s_delay_alu instid0(VALU_DEP_4) | instskip(NEXT) | instid1(VALU_DEP_1)
	v_add_co_u32 v132, s4, s2, v238
	v_add_co_ci_u32_e64 v133, null, s3, 0, s4
	s_clause 0x3
	global_load_b128 v[117:120], v238, s[2:3]
	global_load_b128 v[121:124], v238, s[2:3] offset:1200
	global_load_b128 v[109:112], v238, s[2:3] offset:2400
	;; [unrolled: 1-line block ×3, first 2 shown]
	v_add_co_u32 v9, vcc_lo, 0x1000, v132
	v_add_co_ci_u32_e32 v10, vcc_lo, 0, v133, vcc_lo
	v_add_co_u32 v49, vcc_lo, 0x2000, v132
	scratch_store_b64 off, v[4:5], off      ; 8-byte Folded Spill
	v_mov_b32_e32 v4, v6
	v_lshlrev_b64 v[0:1], 4, v[0:1]
	v_add_co_ci_u32_e32 v50, vcc_lo, 0, v133, vcc_lo
	v_add_co_u32 v51, vcc_lo, 0x3000, v132
	v_add_co_ci_u32_e32 v52, vcc_lo, 0, v133, vcc_lo
	v_lshlrev_b64 v[3:4], 4, v[3:4]
	v_add_co_u32 v0, vcc_lo, s18, v0
	v_add_co_ci_u32_e32 v1, vcc_lo, s19, v1, vcc_lo
	s_mul_i32 s3, s9, 0x4b
	s_mul_hi_u32 s4, s8, 0x4b
	s_delay_alu instid0(VALU_DEP_2)
	v_add_co_u32 v0, vcc_lo, v0, v3
	s_mul_i32 s2, s8, 0x4b
	s_add_i32 s3, s4, s3
	v_add_co_ci_u32_e32 v1, vcc_lo, v1, v4, vcc_lo
	s_lshl_b64 s[12:13], s[2:3], 4
	s_clause 0x1
	global_load_b128 v[147:150], v[9:10], off offset:704
	global_load_b128 v[143:146], v[9:10], off offset:1904
	v_add_co_u32 v7, vcc_lo, v0, s12
	v_add_co_ci_u32_e32 v8, vcc_lo, s13, v1, vcc_lo
	scratch_store_b64 off, v[9:10], off offset:44 ; 8-byte Folded Spill
	v_add_co_u32 v11, vcc_lo, v7, s12
	v_add_co_ci_u32_e32 v12, vcc_lo, s13, v8, vcc_lo
	s_clause 0x1
	global_load_b128 v[151:154], v[9:10], off offset:3104
	global_load_b128 v[125:128], v[49:50], off offset:208
	v_add_co_u32 v15, vcc_lo, v11, s12
	v_add_co_ci_u32_e32 v16, vcc_lo, s13, v12, vcc_lo
	s_clause 0x1
	global_load_b128 v[139:142], v[49:50], off offset:1408
	global_load_b128 v[135:138], v[49:50], off offset:2608
	s_clause 0x1
	global_load_b128 v[3:6], v[0:1], off
	global_load_b128 v[7:10], v[7:8], off
	v_add_co_u32 v0, vcc_lo, v15, s12
	v_add_co_ci_u32_e32 v1, vcc_lo, s13, v16, vcc_lo
	s_clause 0x1
	global_load_b128 v[11:14], v[11:12], off
	global_load_b128 v[15:18], v[15:16], off
	v_add_co_u32 v23, vcc_lo, v0, s12
	v_add_co_ci_u32_e32 v24, vcc_lo, s13, v1, vcc_lo
	global_load_b128 v[19:22], v[0:1], off
	v_add_co_u32 v0, vcc_lo, v23, s12
	v_add_co_ci_u32_e32 v1, vcc_lo, s13, v24, vcc_lo
	scratch_store_b64 off, v[49:50], off offset:36 ; 8-byte Folded Spill
	v_add_co_u32 v31, vcc_lo, v0, s12
	v_add_co_ci_u32_e32 v32, vcc_lo, s13, v1, vcc_lo
	global_load_b128 v[27:30], v[0:1], off
	v_add_co_u32 v0, vcc_lo, v31, s12
	v_add_co_ci_u32_e32 v1, vcc_lo, s13, v32, vcc_lo
	global_load_b128 v[23:26], v[23:24], off
	;; [unrolled: 3-line block ×6, first 2 shown]
	s_clause 0x1
	global_load_b128 v[159:162], v[49:50], off offset:3808
	global_load_b128 v[155:158], v[51:52], off offset:912
	global_load_b128 v[47:50], v[47:48], off
	scratch_store_b64 off, v[51:52], off offset:8 ; 8-byte Folded Spill
	global_load_b128 v[163:166], v[51:52], off offset:2112
	global_load_b128 v[51:54], v[0:1], off
	v_cmp_gt_u16_e32 vcc_lo, 36, v2
	s_waitcnt vmcnt(25)
	scratch_store_b128 off, v[117:120], off offset:92 ; 16-byte Folded Spill
	s_waitcnt vmcnt(24)
	scratch_store_b128 off, v[121:124], off offset:108 ; 16-byte Folded Spill
	;; [unrolled: 2-line block ×9, first 2 shown]
	s_waitcnt vmcnt(15)
	v_mul_f64 v[55:56], v[5:6], v[119:120]
	v_mul_f64 v[57:58], v[3:4], v[119:120]
	s_waitcnt vmcnt(14)
	v_mul_f64 v[59:60], v[9:10], v[123:124]
	v_mul_f64 v[61:62], v[7:8], v[123:124]
	;; [unrolled: 3-line block ×9, first 2 shown]
	v_fma_f64 v[3:4], v[3:4], v[117:118], v[55:56]
	v_fma_f64 v[5:6], v[5:6], v[117:118], -v[57:58]
	v_fma_f64 v[7:8], v[7:8], v[121:122], v[59:60]
	v_fma_f64 v[9:10], v[9:10], v[121:122], -v[61:62]
	;; [unrolled: 2-line block ×3, first 2 shown]
	s_waitcnt vmcnt(4)
	v_mul_f64 v[95:96], v[45:46], v[161:162]
	v_mul_f64 v[97:98], v[43:44], v[161:162]
	s_waitcnt vmcnt(2)
	v_mul_f64 v[99:100], v[49:50], v[157:158]
	v_mul_f64 v[101:102], v[47:48], v[157:158]
	;; [unrolled: 3-line block ×3, first 2 shown]
	v_mul_f64 v[83:84], v[33:34], v[127:128]
	v_mul_f64 v[85:86], v[31:32], v[127:128]
	v_fma_f64 v[15:16], v[15:16], v[113:114], v[67:68]
	v_fma_f64 v[17:18], v[17:18], v[113:114], -v[69:70]
	v_fma_f64 v[19:20], v[19:20], v[147:148], v[71:72]
	v_fma_f64 v[21:22], v[21:22], v[147:148], -v[73:74]
	v_mov_b32_e32 v55, v108
	scratch_store_b128 off, v[109:112], off offset:60 ; 16-byte Folded Spill
	v_fma_f64 v[27:28], v[27:28], v[151:152], v[79:80]
	v_fma_f64 v[29:30], v[29:30], v[151:152], -v[81:82]
	s_clause 0x2
	scratch_store_b128 off, v[159:162], off offset:236
	scratch_store_b128 off, v[163:166], off offset:252
	;; [unrolled: 1-line block ×3, first 2 shown]
	v_fma_f64 v[23:24], v[23:24], v[143:144], v[75:76]
	v_fma_f64 v[25:26], v[25:26], v[143:144], -v[77:78]
	scratch_store_b64 off, v[55:56], off offset:52 ; 8-byte Folded Spill
	v_sub_nc_u32_e32 v55, v108, v107
	s_load_b64 s[10:11], s[0:1], 0x38
	s_load_b128 s[4:7], s[6:7], 0x0
	v_fma_f64 v[35:36], v[35:36], v[139:140], v[87:88]
	v_fma_f64 v[37:38], v[37:38], v[139:140], -v[89:90]
	v_mul_u32_u24_e32 v239, 0x3cf, v55
	v_fma_f64 v[39:40], v[39:40], v[135:136], v[91:92]
	v_fma_f64 v[41:42], v[41:42], v[135:136], -v[93:94]
	s_delay_alu instid0(VALU_DEP_3)
	v_lshlrev_b32_e32 v55, 4, v239
	scratch_store_b32 off, v55, off offset:16 ; 4-byte Folded Spill
	v_fma_f64 v[43:44], v[43:44], v[159:160], v[95:96]
	v_fma_f64 v[45:46], v[45:46], v[159:160], -v[97:98]
	v_fma_f64 v[47:48], v[47:48], v[155:156], v[99:100]
	v_fma_f64 v[49:50], v[49:50], v[155:156], -v[101:102]
	;; [unrolled: 2-line block ×4, first 2 shown]
	v_add_nc_u32_e32 v160, v238, v55
	ds_store_b128 v160, v[3:6]
	ds_store_b128 v160, v[7:10] offset:1200
	ds_store_b128 v160, v[11:14] offset:2400
	;; [unrolled: 1-line block ×12, first 2 shown]
	s_and_saveexec_b32 s3, vcc_lo
	s_cbranch_execz .LBB0_3
; %bb.2:
	v_mad_u64_u32 v[20:21], null, 0xffffca30, s8, v[0:1]
	s_clause 0x1
	global_load_b128 v[0:3], v[132:133], off offset:624
	global_load_b128 v[4:7], v[132:133], off offset:1824
	scratch_load_b64 v[52:53], off, off offset:44 ; 8-byte Folded Reload
	s_mul_i32 s2, s9, 0xffffca30
	global_load_b128 v[8:11], v[132:133], off offset:3024
	s_sub_i32 s2, s2, s8
	s_waitcnt vmcnt(1)
	s_clause 0x1
	global_load_b128 v[12:15], v[52:53], off offset:128
	global_load_b128 v[16:19], v[52:53], off offset:1328
	v_add_nc_u32_e32 v21, s2, v21
	v_add_co_u32 v24, s2, v20, s12
	s_delay_alu instid0(VALU_DEP_1) | instskip(NEXT) | instid1(VALU_DEP_2)
	v_add_co_ci_u32_e64 v25, s2, s13, v21, s2
	v_add_co_u32 v28, s2, v24, s12
	global_load_b128 v[20:23], v[20:21], off
	v_add_co_ci_u32_e64 v29, s2, s13, v25, s2
	v_add_co_u32 v32, s2, v28, s12
	global_load_b128 v[24:27], v[24:25], off
	;; [unrolled: 3-line block ×7, first 2 shown]
	v_add_co_ci_u32_e64 v61, s2, s13, v57, s2
	v_add_co_u32 v76, s2, v60, s12
	s_clause 0x1
	global_load_b128 v[48:51], v[52:53], off offset:2528
	global_load_b128 v[52:55], v[52:53], off offset:3728
	v_add_co_ci_u32_e64 v77, s2, s13, v61, s2
	global_load_b128 v[56:59], v[56:57], off
	global_load_b128 v[60:63], v[60:61], off
	scratch_load_b64 v[78:79], off, off offset:36 ; 8-byte Folded Reload
	v_add_co_u32 v80, s2, v76, s12
	s_delay_alu instid0(VALU_DEP_1)
	v_add_co_ci_u32_e64 v81, s2, s13, v77, s2
	s_waitcnt vmcnt(0)
	s_clause 0x1
	global_load_b128 v[64:67], v[78:79], off offset:832
	global_load_b128 v[68:71], v[78:79], off offset:2032
	global_load_b128 v[72:75], v[76:77], off
	scratch_load_b64 v[96:97], off, off offset:8 ; 8-byte Folded Reload
	v_add_co_u32 v88, s2, v80, s12
	s_delay_alu instid0(VALU_DEP_1)
	v_add_co_ci_u32_e64 v89, s2, s13, v81, s2
	global_load_b128 v[76:79], v[78:79], off offset:3232
	v_add_co_u32 v100, s2, v88, s12
	global_load_b128 v[80:83], v[80:81], off
	v_add_co_ci_u32_e64 v101, s2, s13, v89, s2
	v_mul_f64 v[104:105], v[22:23], v[2:3]
	v_mul_f64 v[2:3], v[20:21], v[2:3]
	;; [unrolled: 1-line block ×14, first 2 shown]
	s_waitcnt vmcnt(2)
	global_load_b128 v[84:87], v[96:97], off offset:336
	global_load_b128 v[88:91], v[88:89], off
	s_clause 0x1
	global_load_b128 v[92:95], v[96:97], off offset:1536
	global_load_b128 v[96:99], v[96:97], off offset:2736
	global_load_b128 v[100:103], v[100:101], off
	v_mul_f64 v[120:121], v[58:59], v[66:67]
	v_mul_f64 v[66:67], v[56:57], v[66:67]
	;; [unrolled: 1-line block ×4, first 2 shown]
	s_waitcnt vmcnt(6)
	v_mul_f64 v[124:125], v[74:75], v[78:79]
	v_mul_f64 v[78:79], v[72:73], v[78:79]
	v_fma_f64 v[18:19], v[20:21], v[0:1], v[104:105]
	v_fma_f64 v[20:21], v[22:23], v[0:1], -v[2:3]
	v_fma_f64 v[0:1], v[24:25], v[4:5], v[106:107]
	v_fma_f64 v[2:3], v[26:27], v[4:5], -v[6:7]
	;; [unrolled: 2-line block ×10, first 2 shown]
	s_waitcnt vmcnt(4)
	v_mul_f64 v[126:127], v[82:83], v[86:87]
	v_mul_f64 v[86:87], v[80:81], v[86:87]
	s_waitcnt vmcnt(2)
	v_mul_f64 v[128:129], v[90:91], v[94:95]
	v_mul_f64 v[94:95], v[88:89], v[94:95]
	;; [unrolled: 3-line block ×3, first 2 shown]
	v_fma_f64 v[42:43], v[80:81], v[84:85], v[126:127]
	v_fma_f64 v[44:45], v[82:83], v[84:85], -v[86:87]
	v_fma_f64 v[46:47], v[88:89], v[92:93], v[128:129]
	v_fma_f64 v[48:49], v[90:91], v[92:93], -v[94:95]
	;; [unrolled: 2-line block ×3, first 2 shown]
	ds_store_b128 v160, v[18:21] offset:624
	ds_store_b128 v160, v[0:3] offset:1824
	;; [unrolled: 1-line block ×13, first 2 shown]
.LBB0_3:
	s_or_b32 exec_lo, exec_lo, s3
	s_waitcnt lgkmcnt(0)
	s_waitcnt_vscnt null, 0x0
	s_barrier
	buffer_gl0_inv
	ds_load_b128 v[0:3], v160
	ds_load_b128 v[60:63], v160 offset:1200
	ds_load_b128 v[64:67], v160 offset:2400
	;; [unrolled: 1-line block ×12, first 2 shown]
	scratch_load_b64 v[4:5], off, off       ; 8-byte Folded Reload
	s_load_b64 s[2:3], s[0:1], 0x8
	s_waitcnt vmcnt(0)
	v_mov_b32_e32 v5, s14
                                        ; implicit-def: $vgpr12_vgpr13
                                        ; implicit-def: $vgpr40_vgpr41
                                        ; implicit-def: $vgpr44_vgpr45
                                        ; implicit-def: $vgpr52_vgpr53
                                        ; implicit-def: $vgpr48_vgpr49
                                        ; implicit-def: $vgpr36_vgpr37
                                        ; implicit-def: $vgpr32_vgpr33
                                        ; implicit-def: $vgpr28_vgpr29
                                        ; implicit-def: $vgpr24_vgpr25
                                        ; implicit-def: $vgpr20_vgpr21
                                        ; implicit-def: $vgpr16_vgpr17
                                        ; implicit-def: $vgpr8_vgpr9
	scratch_store_b64 off, v[4:5], off      ; 8-byte Folded Spill
                                        ; implicit-def: $vgpr4_vgpr5
	s_and_saveexec_b32 s0, vcc_lo
	s_cbranch_execz .LBB0_5
; %bb.4:
	ds_load_b128 v[12:15], v160 offset:624
	ds_load_b128 v[40:43], v160 offset:1824
	;; [unrolled: 1-line block ×13, first 2 shown]
.LBB0_5:
	s_or_b32 exec_lo, exec_lo, s0
	s_waitcnt lgkmcnt(0)
	v_add_f64 v[104:105], v[0:1], v[60:61]
	v_add_f64 v[106:107], v[2:3], v[62:63]
	v_add_f64 v[108:109], v[100:101], -v[96:97]
	v_add_f64 v[110:111], v[102:103], -v[98:99]
	s_mov_b32 s24, 0x4267c47c
	s_mov_b32 s26, 0x42a4c3d2
	;; [unrolled: 1-line block ×34, first 2 shown]
	v_add_f64 v[104:105], v[104:105], v[64:65]
	v_add_f64 v[106:107], v[106:107], v[66:67]
	s_mov_b32 s41, 0x3fea55e2
	v_mul_f64 v[165:166], v[110:111], s[30:31]
	v_mul_f64 v[194:195], v[110:111], s[36:37]
	;; [unrolled: 1-line block ×3, first 2 shown]
	s_mov_b32 s40, s26
	v_mul_f64 v[236:237], v[110:111], s[12:13]
	v_mul_f64 v[220:221], v[110:111], s[40:41]
	v_mul_f64 v[110:111], v[110:111], s[34:35]
	v_lshlrev_b32_e32 v134, 4, v239
	v_add_f64 v[104:105], v[104:105], v[68:69]
	v_add_f64 v[106:107], v[106:107], v[70:71]
	s_delay_alu instid0(VALU_DEP_2) | instskip(NEXT) | instid1(VALU_DEP_2)
	v_add_f64 v[104:105], v[104:105], v[80:81]
	v_add_f64 v[106:107], v[106:107], v[82:83]
	s_delay_alu instid0(VALU_DEP_2) | instskip(NEXT) | instid1(VALU_DEP_2)
	;; [unrolled: 3-line block ×3, first 2 shown]
	v_add_f64 v[104:105], v[104:105], v[100:101]
	v_add_f64 v[106:107], v[106:107], v[102:103]
	;; [unrolled: 1-line block ×4, first 2 shown]
	s_delay_alu instid0(VALU_DEP_4) | instskip(NEXT) | instid1(VALU_DEP_4)
	v_add_f64 v[96:97], v[104:105], v[96:97]
	v_add_f64 v[98:99], v[106:107], v[98:99]
	v_add_f64 v[104:105], v[88:89], v[92:93]
	v_add_f64 v[106:107], v[90:91], v[94:95]
	v_add_f64 v[88:89], v[88:89], -v[92:93]
	v_add_f64 v[90:91], v[90:91], -v[94:95]
	v_add_f64 v[92:93], v[96:97], v[92:93]
	v_add_f64 v[94:95], v[98:99], v[94:95]
	;; [unrolled: 1-line block ×4, first 2 shown]
	v_add_f64 v[80:81], v[80:81], -v[84:85]
	v_add_f64 v[82:83], v[82:83], -v[86:87]
	v_mul_f64 v[163:164], v[88:89], s[8:9]
	v_mul_f64 v[190:191], v[90:91], s[34:35]
	;; [unrolled: 1-line block ×10, first 2 shown]
	v_add_f64 v[84:85], v[92:93], v[84:85]
	v_add_f64 v[86:87], v[94:95], v[86:87]
	;; [unrolled: 1-line block ×4, first 2 shown]
	v_add_f64 v[68:69], v[68:69], -v[76:77]
	v_add_f64 v[70:71], v[70:71], -v[78:79]
	v_mul_f64 v[188:189], v[80:81], s[38:39]
	v_mul_f64 v[198:199], v[82:83], s[36:37]
	;; [unrolled: 1-line block ×7, first 2 shown]
	v_add_f64 v[76:77], v[84:85], v[76:77]
	v_add_f64 v[78:79], v[86:87], v[78:79]
	;; [unrolled: 1-line block ×4, first 2 shown]
	v_add_f64 v[64:65], v[64:65], -v[72:73]
	v_add_f64 v[66:67], v[66:67], -v[74:75]
	v_mul_f64 v[186:187], v[70:71], s[42:43]
	v_mul_f64 v[196:197], v[68:69], s[42:43]
	;; [unrolled: 1-line block ×6, first 2 shown]
	v_add_f64 v[72:73], v[76:77], v[72:73]
	v_add_f64 v[74:75], v[78:79], v[74:75]
	v_add_f64 v[76:77], v[62:63], -v[58:59]
	v_add_f64 v[78:79], v[60:61], v[56:57]
	v_add_f64 v[62:63], v[62:63], v[58:59]
	v_add_f64 v[60:61], v[60:61], -v[56:57]
	v_mul_f64 v[184:185], v[64:65], s[30:31]
	v_mul_f64 v[180:181], v[66:67], s[38:39]
	;; [unrolled: 1-line block ×5, first 2 shown]
	v_add_f64 v[136:137], v[72:73], v[56:57]
	v_add_f64 v[138:139], v[74:75], v[58:59]
	v_mul_f64 v[56:57], v[76:77], s[24:25]
	v_mul_f64 v[58:59], v[76:77], s[26:27]
	;; [unrolled: 1-line block ×10, first 2 shown]
	v_fma_f64 v[114:115], v[78:79], s[0:1], -v[56:57]
	v_fma_f64 v[56:57], v[78:79], s[0:1], v[56:57]
	v_fma_f64 v[116:117], v[78:79], s[16:17], -v[58:59]
	v_fma_f64 v[58:59], v[78:79], s[16:17], v[58:59]
	;; [unrolled: 2-line block ×6, first 2 shown]
	v_mul_f64 v[78:79], v[60:61], s[24:25]
	v_mul_f64 v[60:61], v[60:61], s[30:31]
	v_fma_f64 v[144:145], v[62:63], s[16:17], v[126:127]
	v_fma_f64 v[126:127], v[62:63], s[16:17], -v[126:127]
	v_fma_f64 v[146:147], v[62:63], s[22:23], v[128:129]
	v_fma_f64 v[128:129], v[62:63], s[22:23], -v[128:129]
	;; [unrolled: 2-line block ×4, first 2 shown]
	v_add_f64 v[56:57], v[0:1], v[56:57]
	v_add_f64 v[116:117], v[0:1], v[116:117]
	;; [unrolled: 1-line block ×10, first 2 shown]
	v_fma_f64 v[142:143], v[62:63], s[0:1], v[78:79]
	v_fma_f64 v[78:79], v[62:63], s[0:1], -v[78:79]
	v_fma_f64 v[152:153], v[62:63], s[14:15], v[60:61]
	v_fma_f64 v[60:61], v[62:63], s[14:15], -v[60:61]
	v_add_f64 v[62:63], v[0:1], v[114:115]
	v_add_f64 v[154:155], v[2:3], v[144:145]
	;; [unrolled: 1-line block ×10, first 2 shown]
	v_mul_f64 v[144:145], v[70:71], s[28:29]
	v_mul_f64 v[146:147], v[68:69], s[28:29]
	;; [unrolled: 1-line block ×5, first 2 shown]
	v_add_f64 v[114:115], v[2:3], v[142:143]
	v_add_f64 v[78:79], v[2:3], v[78:79]
	;; [unrolled: 1-line block ×4, first 2 shown]
	v_mul_f64 v[60:61], v[66:67], s[26:27]
	v_mul_f64 v[152:153], v[90:91], s[8:9]
	;; [unrolled: 1-line block ×3, first 2 shown]
	s_delay_alu instid0(VALU_DEP_3) | instskip(SKIP_1) | instid1(VALU_DEP_2)
	v_fma_f64 v[76:77], v[84:85], s[16:17], -v[60:61]
	v_fma_f64 v[60:61], v[84:85], s[16:17], v[60:61]
	v_add_f64 v[62:63], v[76:77], v[62:63]
	v_mul_f64 v[76:77], v[64:65], s[26:27]
	s_delay_alu instid0(VALU_DEP_3) | instskip(NEXT) | instid1(VALU_DEP_2)
	v_add_f64 v[56:57], v[60:61], v[56:57]
	v_fma_f64 v[140:141], v[86:87], s[16:17], v[76:77]
	v_fma_f64 v[60:61], v[86:87], s[16:17], -v[76:77]
	v_fma_f64 v[76:77], v[92:93], s[22:23], v[144:145]
	s_delay_alu instid0(VALU_DEP_3) | instskip(SKIP_1) | instid1(VALU_DEP_4)
	v_add_f64 v[114:115], v[140:141], v[114:115]
	v_fma_f64 v[140:141], v[92:93], s[22:23], -v[144:145]
	v_add_f64 v[60:61], v[60:61], v[78:79]
	s_delay_alu instid0(VALU_DEP_4)
	v_add_f64 v[56:57], v[76:77], v[56:57]
	v_fma_f64 v[76:77], v[94:95], s[22:23], -v[146:147]
	v_mul_f64 v[78:79], v[70:71], s[30:31]
	v_mul_f64 v[70:71], v[70:71], s[8:9]
	v_add_f64 v[62:63], v[140:141], v[62:63]
	v_fma_f64 v[140:141], v[94:95], s[22:23], v[146:147]
	v_add_f64 v[60:61], v[76:77], v[60:61]
	v_fma_f64 v[76:77], v[96:97], s[20:21], v[148:149]
	s_delay_alu instid0(VALU_DEP_3) | instskip(SKIP_1) | instid1(VALU_DEP_3)
	v_add_f64 v[114:115], v[140:141], v[114:115]
	v_fma_f64 v[140:141], v[96:97], s[20:21], -v[148:149]
	v_add_f64 v[56:57], v[76:77], v[56:57]
	v_fma_f64 v[76:77], v[98:99], s[20:21], -v[150:151]
	s_delay_alu instid0(VALU_DEP_3) | instskip(SKIP_1) | instid1(VALU_DEP_3)
	v_add_f64 v[62:63], v[140:141], v[62:63]
	v_fma_f64 v[140:141], v[98:99], s[20:21], v[150:151]
	v_add_f64 v[60:61], v[76:77], v[60:61]
	v_fma_f64 v[76:77], v[104:105], s[18:19], v[152:153]
	s_delay_alu instid0(VALU_DEP_3) | instskip(SKIP_1) | instid1(VALU_DEP_3)
	v_add_f64 v[114:115], v[140:141], v[114:115]
	v_fma_f64 v[140:141], v[104:105], s[18:19], -v[152:153]
	v_add_f64 v[56:57], v[76:77], v[56:57]
	v_fma_f64 v[76:77], v[106:107], s[18:19], -v[163:164]
	s_delay_alu instid0(VALU_DEP_3) | instskip(SKIP_1) | instid1(VALU_DEP_3)
	v_add_f64 v[62:63], v[140:141], v[62:63]
	v_fma_f64 v[140:141], v[106:107], s[18:19], v[163:164]
	v_add_f64 v[60:61], v[76:77], v[60:61]
	v_fma_f64 v[76:77], v[100:101], s[14:15], v[165:166]
	s_delay_alu instid0(VALU_DEP_3) | instskip(SKIP_1) | instid1(VALU_DEP_3)
	v_add_f64 v[114:115], v[140:141], v[114:115]
	v_fma_f64 v[140:141], v[100:101], s[14:15], -v[165:166]
	v_add_f64 v[144:145], v[76:77], v[56:57]
	v_mul_f64 v[56:57], v[66:67], s[12:13]
	s_delay_alu instid0(VALU_DEP_3) | instskip(SKIP_1) | instid1(VALU_DEP_1)
	v_add_f64 v[140:141], v[140:141], v[62:63]
	v_mul_f64 v[62:63], v[108:109], s[30:31]
	v_fma_f64 v[142:143], v[102:103], s[14:15], v[62:63]
	v_fma_f64 v[62:63], v[102:103], s[14:15], -v[62:63]
	s_delay_alu instid0(VALU_DEP_2) | instskip(NEXT) | instid1(VALU_DEP_2)
	v_add_f64 v[142:143], v[142:143], v[114:115]
	v_add_f64 v[146:147], v[62:63], v[60:61]
	v_fma_f64 v[60:61], v[84:85], s[20:21], -v[56:57]
	v_mul_f64 v[62:63], v[64:65], s[12:13]
	v_fma_f64 v[114:115], v[92:93], s[14:15], -v[78:79]
	v_mul_f64 v[64:65], v[64:65], s[36:37]
	s_delay_alu instid0(VALU_DEP_4) | instskip(NEXT) | instid1(VALU_DEP_4)
	v_add_f64 v[60:61], v[60:61], v[116:117]
	v_fma_f64 v[76:77], v[86:87], s[20:21], v[62:63]
	s_delay_alu instid0(VALU_DEP_2) | instskip(SKIP_1) | instid1(VALU_DEP_3)
	v_add_f64 v[60:61], v[114:115], v[60:61]
	v_mul_f64 v[114:115], v[68:69], s[30:31]
	v_add_f64 v[76:77], v[76:77], v[154:155]
	v_fma_f64 v[154:155], v[92:93], s[20:21], -v[186:187]
	v_mul_f64 v[68:69], v[68:69], s[8:9]
	s_delay_alu instid0(VALU_DEP_4) | instskip(NEXT) | instid1(VALU_DEP_1)
	v_fma_f64 v[116:117], v[94:95], s[14:15], v[114:115]
	v_add_f64 v[76:77], v[116:117], v[76:77]
	v_mul_f64 v[116:117], v[82:83], s[38:39]
	v_mul_f64 v[82:83], v[82:83], s[40:41]
	s_delay_alu instid0(VALU_DEP_2) | instskip(NEXT) | instid1(VALU_DEP_1)
	v_fma_f64 v[148:149], v[96:97], s[18:19], -v[116:117]
	v_add_f64 v[60:61], v[148:149], v[60:61]
	v_fma_f64 v[148:149], v[98:99], s[18:19], v[188:189]
	s_delay_alu instid0(VALU_DEP_1) | instskip(SKIP_1) | instid1(VALU_DEP_1)
	v_add_f64 v[76:77], v[148:149], v[76:77]
	v_fma_f64 v[148:149], v[104:105], s[22:23], -v[190:191]
	v_add_f64 v[60:61], v[148:149], v[60:61]
	v_fma_f64 v[148:149], v[106:107], s[22:23], v[192:193]
	s_delay_alu instid0(VALU_DEP_1) | instskip(SKIP_1) | instid1(VALU_DEP_1)
	v_add_f64 v[76:77], v[148:149], v[76:77]
	v_fma_f64 v[148:149], v[100:101], s[0:1], -v[194:195]
	v_add_f64 v[148:149], v[148:149], v[60:61]
	v_mul_f64 v[60:61], v[108:109], s[36:37]
	s_delay_alu instid0(VALU_DEP_1) | instskip(NEXT) | instid1(VALU_DEP_1)
	v_fma_f64 v[150:151], v[102:103], s[0:1], v[60:61]
	v_add_f64 v[150:151], v[150:151], v[76:77]
	v_mul_f64 v[76:77], v[66:67], s[30:31]
	v_mul_f64 v[66:67], v[66:67], s[36:37]
	s_delay_alu instid0(VALU_DEP_2) | instskip(NEXT) | instid1(VALU_DEP_1)
	v_fma_f64 v[152:153], v[84:85], s[14:15], -v[76:77]
	v_add_f64 v[118:119], v[152:153], v[118:119]
	v_fma_f64 v[152:153], v[86:87], s[14:15], v[184:185]
	s_delay_alu instid0(VALU_DEP_2) | instskip(NEXT) | instid1(VALU_DEP_2)
	v_add_f64 v[118:119], v[154:155], v[118:119]
	v_add_f64 v[152:153], v[152:153], v[156:157]
	v_fma_f64 v[154:155], v[94:95], s[20:21], v[196:197]
	s_delay_alu instid0(VALU_DEP_1) | instskip(SKIP_1) | instid1(VALU_DEP_1)
	v_add_f64 v[152:153], v[154:155], v[152:153]
	v_fma_f64 v[154:155], v[96:97], s[0:1], -v[198:199]
	v_add_f64 v[118:119], v[154:155], v[118:119]
	v_fma_f64 v[154:155], v[98:99], s[0:1], v[200:201]
	s_delay_alu instid0(VALU_DEP_1) | instskip(SKIP_1) | instid1(VALU_DEP_1)
	v_add_f64 v[152:153], v[154:155], v[152:153]
	v_fma_f64 v[154:155], v[104:105], s[16:17], -v[202:203]
	;; [unrolled: 5-line block ×3, first 2 shown]
	v_add_f64 v[152:153], v[152:153], v[118:119]
	v_mul_f64 v[118:119], v[108:109], s[8:9]
	s_delay_alu instid0(VALU_DEP_1) | instskip(NEXT) | instid1(VALU_DEP_1)
	v_fma_f64 v[156:157], v[102:103], s[18:19], v[118:119]
	v_add_f64 v[154:155], v[156:157], v[154:155]
	v_fma_f64 v[156:157], v[84:85], s[18:19], -v[180:181]
	s_delay_alu instid0(VALU_DEP_1) | instskip(SKIP_1) | instid1(VALU_DEP_1)
	v_add_f64 v[120:121], v[156:157], v[120:121]
	v_fma_f64 v[156:157], v[86:87], s[18:19], v[182:183]
	v_add_f64 v[156:157], v[156:157], v[158:159]
	v_fma_f64 v[158:159], v[92:93], s[0:1], -v[208:209]
	s_delay_alu instid0(VALU_DEP_1) | instskip(SKIP_1) | instid1(VALU_DEP_1)
	v_add_f64 v[120:121], v[158:159], v[120:121]
	;; [unrolled: 5-line block ×5, first 2 shown]
	v_mul_f64 v[120:121], v[108:109], s[40:41]
	v_fma_f64 v[163:164], v[102:103], s[16:17], v[120:121]
	s_delay_alu instid0(VALU_DEP_1) | instskip(SKIP_1) | instid1(VALU_DEP_1)
	v_add_f64 v[158:159], v[163:164], v[158:159]
	v_fma_f64 v[163:164], v[84:85], s[22:23], -v[178:179]
	v_add_f64 v[122:123], v[163:164], v[122:123]
	v_fma_f64 v[163:164], v[86:87], s[22:23], v[222:223]
	s_delay_alu instid0(VALU_DEP_1) | instskip(SKIP_1) | instid1(VALU_DEP_1)
	v_add_f64 v[161:162], v[163:164], v[161:162]
	v_fma_f64 v[163:164], v[92:93], s[16:17], -v[224:225]
	v_add_f64 v[122:123], v[163:164], v[122:123]
	;; [unrolled: 5-line block ×5, first 2 shown]
	v_mul_f64 v[122:123], v[108:109], s[12:13]
	v_mul_f64 v[108:109], v[108:109], s[34:35]
	s_delay_alu instid0(VALU_DEP_2) | instskip(NEXT) | instid1(VALU_DEP_1)
	v_fma_f64 v[166:167], v[102:103], s[20:21], v[122:123]
	v_add_f64 v[166:167], v[166:167], v[161:162]
	v_fma_f64 v[161:162], v[84:85], s[0:1], -v[66:67]
	v_fma_f64 v[66:67], v[84:85], s[0:1], v[66:67]
	s_delay_alu instid0(VALU_DEP_2) | instskip(SKIP_2) | instid1(VALU_DEP_4)
	v_add_f64 v[124:125], v[161:162], v[124:125]
	v_fma_f64 v[161:162], v[86:87], s[0:1], v[64:65]
	v_fma_f64 v[64:65], v[86:87], s[0:1], -v[64:65]
	v_add_f64 v[0:1], v[66:67], v[0:1]
	v_fma_f64 v[66:67], v[102:103], s[22:23], -v[108:109]
	s_delay_alu instid0(VALU_DEP_4) | instskip(NEXT) | instid1(VALU_DEP_4)
	v_add_f64 v[161:162], v[161:162], v[168:169]
	v_add_f64 v[2:3], v[64:65], v[2:3]
	v_fma_f64 v[64:65], v[92:93], s[18:19], v[70:71]
	v_fma_f64 v[168:169], v[92:93], s[18:19], -v[70:71]
	s_delay_alu instid0(VALU_DEP_2) | instskip(SKIP_1) | instid1(VALU_DEP_3)
	v_add_f64 v[0:1], v[64:65], v[0:1]
	v_fma_f64 v[64:65], v[94:95], s[18:19], -v[68:69]
	v_add_f64 v[124:125], v[168:169], v[124:125]
	v_fma_f64 v[168:169], v[94:95], s[18:19], v[68:69]
	v_add_f64 v[68:69], v[36:37], v[24:25]
	s_delay_alu instid0(VALU_DEP_4) | instskip(SKIP_1) | instid1(VALU_DEP_4)
	v_add_f64 v[2:3], v[64:65], v[2:3]
	v_fma_f64 v[64:65], v[96:97], s[16:17], v[82:83]
	v_add_f64 v[161:162], v[168:169], v[161:162]
	v_fma_f64 v[168:169], v[96:97], s[16:17], -v[82:83]
	s_delay_alu instid0(VALU_DEP_3) | instskip(SKIP_1) | instid1(VALU_DEP_3)
	v_add_f64 v[0:1], v[64:65], v[0:1]
	v_fma_f64 v[64:65], v[98:99], s[16:17], -v[80:81]
	v_add_f64 v[124:125], v[168:169], v[124:125]
	v_fma_f64 v[168:169], v[98:99], s[16:17], v[80:81]
	v_add_f64 v[80:81], v[48:49], v[20:21]
	s_delay_alu instid0(VALU_DEP_4) | instskip(SKIP_1) | instid1(VALU_DEP_4)
	v_add_f64 v[2:3], v[64:65], v[2:3]
	v_fma_f64 v[64:65], v[104:105], s[20:21], v[90:91]
	v_add_f64 v[161:162], v[168:169], v[161:162]
	v_fma_f64 v[168:169], v[104:105], s[20:21], -v[90:91]
	v_add_f64 v[90:91], v[46:47], -v[10:11]
	s_delay_alu instid0(VALU_DEP_4) | instskip(SKIP_1) | instid1(VALU_DEP_4)
	v_add_f64 v[0:1], v[64:65], v[0:1]
	v_fma_f64 v[64:65], v[106:107], s[20:21], -v[88:89]
	v_add_f64 v[124:125], v[168:169], v[124:125]
	v_fma_f64 v[168:169], v[106:107], s[20:21], v[88:89]
	v_add_f64 v[88:89], v[50:51], -v[22:23]
	s_delay_alu instid0(VALU_DEP_4) | instskip(SKIP_1) | instid1(VALU_DEP_4)
	v_add_f64 v[2:3], v[64:65], v[2:3]
	v_fma_f64 v[64:65], v[100:101], s[22:23], v[110:111]
	v_add_f64 v[161:162], v[168:169], v[161:162]
	v_fma_f64 v[168:169], v[100:101], s[22:23], -v[110:111]
	v_add_f64 v[110:111], v[54:55], v[18:19]
	v_mul_f64 v[82:83], v[88:89], s[12:13]
	v_add_f64 v[174:175], v[66:67], v[2:3]
	v_add_f64 v[172:173], v[64:65], v[0:1]
	v_fma_f64 v[0:1], v[84:85], s[22:23], v[178:179]
	v_fma_f64 v[2:3], v[86:87], s[22:23], -v[222:223]
	v_fma_f64 v[64:65], v[92:93], s[16:17], v[224:225]
	v_fma_f64 v[66:67], v[102:103], s[20:21], -v[122:123]
	v_add_f64 v[168:169], v[168:169], v[124:125]
	v_fma_f64 v[124:125], v[102:103], s[22:23], v[108:109]
	v_add_f64 v[122:123], v[42:43], v[6:7]
	v_add_f64 v[108:109], v[44:45], -v[8:9]
	v_add_f64 v[0:1], v[0:1], v[112:113]
	v_add_f64 v[2:3], v[2:3], v[176:177]
	;; [unrolled: 1-line block ×3, first 2 shown]
	v_add_f64 v[124:125], v[40:41], -v[4:5]
	s_delay_alu instid0(VALU_DEP_4) | instskip(SKIP_1) | instid1(VALU_DEP_1)
	v_add_f64 v[0:1], v[64:65], v[0:1]
	v_fma_f64 v[64:65], v[94:95], s[16:17], -v[226:227]
	v_add_f64 v[2:3], v[64:65], v[2:3]
	v_fma_f64 v[64:65], v[96:97], s[14:15], v[228:229]
	s_delay_alu instid0(VALU_DEP_1) | instskip(SKIP_1) | instid1(VALU_DEP_1)
	v_add_f64 v[0:1], v[64:65], v[0:1]
	v_fma_f64 v[64:65], v[98:99], s[14:15], -v[230:231]
	v_add_f64 v[2:3], v[64:65], v[2:3]
	v_fma_f64 v[64:65], v[104:105], s[0:1], v[232:233]
	s_delay_alu instid0(VALU_DEP_1) | instskip(SKIP_1) | instid1(VALU_DEP_1)
	v_add_f64 v[0:1], v[64:65], v[0:1]
	v_fma_f64 v[64:65], v[106:107], s[0:1], -v[234:235]
	v_add_f64 v[2:3], v[64:65], v[2:3]
	v_fma_f64 v[64:65], v[100:101], s[20:21], v[236:237]
	s_delay_alu instid0(VALU_DEP_2) | instskip(NEXT) | instid1(VALU_DEP_2)
	v_add_f64 v[178:179], v[66:67], v[2:3]
	v_add_f64 v[176:177], v[64:65], v[0:1]
	v_fma_f64 v[0:1], v[84:85], s[18:19], v[180:181]
	v_fma_f64 v[2:3], v[86:87], s[18:19], -v[182:183]
	v_fma_f64 v[64:65], v[92:93], s[0:1], v[208:209]
	v_fma_f64 v[66:67], v[102:103], s[16:17], -v[120:121]
	v_add_f64 v[120:121], v[42:43], -v[6:7]
	v_add_f64 v[0:1], v[0:1], v[74:75]
	v_add_f64 v[2:3], v[2:3], v[130:131]
	;; [unrolled: 1-line block ×3, first 2 shown]
	s_delay_alu instid0(VALU_DEP_3) | instskip(SKIP_1) | instid1(VALU_DEP_1)
	v_add_f64 v[0:1], v[64:65], v[0:1]
	v_fma_f64 v[64:65], v[94:95], s[0:1], -v[210:211]
	v_add_f64 v[2:3], v[64:65], v[2:3]
	v_fma_f64 v[64:65], v[96:97], s[22:23], v[212:213]
	s_delay_alu instid0(VALU_DEP_1) | instskip(SKIP_1) | instid1(VALU_DEP_1)
	v_add_f64 v[0:1], v[64:65], v[0:1]
	v_fma_f64 v[64:65], v[98:99], s[22:23], -v[214:215]
	v_add_f64 v[2:3], v[64:65], v[2:3]
	v_fma_f64 v[64:65], v[104:105], s[14:15], v[216:217]
	s_delay_alu instid0(VALU_DEP_1) | instskip(SKIP_1) | instid1(VALU_DEP_1)
	v_add_f64 v[0:1], v[64:65], v[0:1]
	v_fma_f64 v[64:65], v[106:107], s[14:15], -v[218:219]
	v_add_f64 v[2:3], v[64:65], v[2:3]
	v_fma_f64 v[64:65], v[100:101], s[16:17], v[220:221]
	s_delay_alu instid0(VALU_DEP_2) | instskip(NEXT) | instid1(VALU_DEP_2)
	v_add_f64 v[182:183], v[66:67], v[2:3]
	v_add_f64 v[180:181], v[64:65], v[0:1]
	v_fma_f64 v[0:1], v[84:85], s[14:15], v[76:77]
	v_fma_f64 v[2:3], v[86:87], s[14:15], -v[184:185]
	v_fma_f64 v[64:65], v[92:93], s[20:21], v[186:187]
	v_fma_f64 v[66:67], v[102:103], s[18:19], -v[118:119]
	v_mul_f64 v[118:119], v[120:121], s[24:25]
	v_add_f64 v[76:77], v[36:37], -v[24:25]
	v_add_f64 v[0:1], v[0:1], v[72:73]
	v_add_f64 v[2:3], v[2:3], v[128:129]
	v_add_f64 v[72:73], v[38:39], -v[26:27]
	s_delay_alu instid0(VALU_DEP_3) | instskip(SKIP_1) | instid1(VALU_DEP_3)
	v_add_f64 v[0:1], v[64:65], v[0:1]
	v_fma_f64 v[64:65], v[94:95], s[20:21], -v[196:197]
	v_mul_f64 v[70:71], v[72:73], s[8:9]
	s_delay_alu instid0(VALU_DEP_2) | instskip(SKIP_1) | instid1(VALU_DEP_1)
	v_add_f64 v[2:3], v[64:65], v[2:3]
	v_fma_f64 v[64:65], v[96:97], s[0:1], v[198:199]
	v_add_f64 v[0:1], v[64:65], v[0:1]
	v_fma_f64 v[64:65], v[98:99], s[0:1], -v[200:201]
	s_delay_alu instid0(VALU_DEP_1) | instskip(SKIP_1) | instid1(VALU_DEP_1)
	v_add_f64 v[2:3], v[64:65], v[2:3]
	v_fma_f64 v[64:65], v[104:105], s[16:17], v[202:203]
	v_add_f64 v[0:1], v[64:65], v[0:1]
	v_fma_f64 v[64:65], v[106:107], s[16:17], -v[204:205]
	s_delay_alu instid0(VALU_DEP_1) | instskip(SKIP_1) | instid1(VALU_DEP_2)
	v_add_f64 v[2:3], v[64:65], v[2:3]
	v_fma_f64 v[64:65], v[100:101], s[18:19], v[206:207]
	v_add_f64 v[186:187], v[66:67], v[2:3]
	s_delay_alu instid0(VALU_DEP_2)
	v_add_f64 v[184:185], v[64:65], v[0:1]
	v_fma_f64 v[0:1], v[84:85], s[20:21], v[56:57]
	v_fma_f64 v[2:3], v[86:87], s[20:21], -v[62:63]
	v_fma_f64 v[56:57], v[92:93], s[14:15], v[78:79]
	v_fma_f64 v[62:63], v[94:95], s[14:15], -v[114:115]
	v_fma_f64 v[64:65], v[98:99], s[18:19], -v[188:189]
	v_add_f64 v[84:85], v[44:45], v[8:9]
	v_mul_f64 v[86:87], v[90:91], s[26:27]
	v_add_f64 v[98:99], v[52:53], v[16:17]
	v_add_f64 v[114:115], v[52:53], -v[16:17]
	v_add_f64 v[94:95], v[48:49], -v[20:21]
	v_add_f64 v[92:93], v[50:51], v[22:23]
	v_mul_f64 v[78:79], v[76:77], s[8:9]
	v_add_f64 v[66:67], v[32:33], -v[28:29]
	v_add_f64 v[0:1], v[0:1], v[58:59]
	v_add_f64 v[2:3], v[2:3], v[126:127]
	v_fma_f64 v[58:59], v[96:97], s[18:19], v[116:117]
	v_add_f64 v[116:117], v[40:41], v[4:5]
	v_mul_f64 v[126:127], v[124:125], s[24:25]
	v_mul_f64 v[112:113], v[114:115], s[28:29]
	;; [unrolled: 1-line block ×3, first 2 shown]
	v_add_f64 v[0:1], v[56:57], v[0:1]
	v_add_f64 v[2:3], v[62:63], v[2:3]
	v_fma_f64 v[56:57], v[104:105], s[22:23], v[190:191]
	v_add_f64 v[104:105], v[46:47], v[10:11]
	s_delay_alu instid0(VALU_DEP_4) | instskip(NEXT) | instid1(VALU_DEP_4)
	v_add_f64 v[0:1], v[58:59], v[0:1]
	v_add_f64 v[2:3], v[64:65], v[2:3]
	v_fma_f64 v[58:59], v[106:107], s[22:23], -v[192:193]
	v_mul_f64 v[106:107], v[108:109], s[26:27]
	v_add_f64 v[64:65], v[34:35], v[30:31]
	v_add_f64 v[0:1], v[56:57], v[0:1]
	v_fma_f64 v[56:57], v[100:101], s[0:1], v[194:195]
	v_add_f64 v[2:3], v[58:59], v[2:3]
	v_fma_f64 v[58:59], v[102:103], s[0:1], -v[60:61]
	v_add_f64 v[102:103], v[54:55], -v[18:19]
	v_add_f64 v[60:61], v[34:35], -v[30:31]
	v_add_f64 v[188:189], v[56:57], v[0:1]
	v_fma_f64 v[0:1], v[116:117], s[0:1], v[118:119]
	v_add_f64 v[190:191], v[58:59], v[2:3]
	v_fma_f64 v[2:3], v[84:85], s[16:17], v[86:87]
	v_fma_f64 v[56:57], v[104:105], s[16:17], -v[106:107]
	v_mul_f64 v[100:101], v[102:103], s[28:29]
	v_mul_f64 v[161:162], v[60:61], s[30:31]
	v_add_f64 v[0:1], v[12:13], v[0:1]
	s_delay_alu instid0(VALU_DEP_1) | instskip(SKIP_1) | instid1(VALU_DEP_1)
	v_add_f64 v[0:1], v[2:3], v[0:1]
	v_fma_f64 v[2:3], v[122:123], s[0:1], -v[126:127]
	v_add_f64 v[2:3], v[14:15], v[2:3]
	s_delay_alu instid0(VALU_DEP_1) | instskip(SKIP_1) | instid1(VALU_DEP_1)
	v_add_f64 v[2:3], v[56:57], v[2:3]
	v_fma_f64 v[56:57], v[98:99], s[22:23], v[100:101]
	v_add_f64 v[0:1], v[56:57], v[0:1]
	v_fma_f64 v[56:57], v[110:111], s[22:23], -v[112:113]
	s_delay_alu instid0(VALU_DEP_1) | instskip(SKIP_1) | instid1(VALU_DEP_1)
	v_add_f64 v[2:3], v[56:57], v[2:3]
	v_fma_f64 v[56:57], v[80:81], s[20:21], v[82:83]
	v_add_f64 v[0:1], v[56:57], v[0:1]
	v_fma_f64 v[56:57], v[92:93], s[20:21], -v[96:97]
	;; [unrolled: 5-line block ×3, first 2 shown]
	s_delay_alu instid0(VALU_DEP_1) | instskip(SKIP_1) | instid1(VALU_DEP_1)
	v_add_f64 v[2:3], v[56:57], v[2:3]
	v_add_f64 v[56:57], v[32:33], v[28:29]
	v_fma_f64 v[62:63], v[56:57], s[14:15], v[161:162]
	s_delay_alu instid0(VALU_DEP_1) | instskip(SKIP_1) | instid1(VALU_DEP_1)
	v_add_f64 v[192:193], v[62:63], v[0:1]
	v_mul_f64 v[62:63], v[66:67], s[30:31]
	v_fma_f64 v[128:129], v[64:65], s[14:15], -v[62:63]
	s_delay_alu instid0(VALU_DEP_1)
	v_add_f64 v[194:195], v[128:129], v[2:3]
	scratch_load_b64 v[128:129], off, off   ; 8-byte Folded Reload
	s_waitcnt vmcnt(0)
	s_waitcnt_vscnt null, 0x0
	s_barrier
	buffer_gl0_inv
	v_mul_lo_u16 v58, v128, 13
	v_add_co_u32 v130, s33, v128, 39
	s_delay_alu instid0(VALU_DEP_1) | instskip(NEXT) | instid1(VALU_DEP_3)
	v_add_co_ci_u32_e64 v131, null, 0, 0, s33
	v_and_b32_e32 v58, 0xffff, v58
	s_delay_alu instid0(VALU_DEP_1) | instskip(NEXT) | instid1(VALU_DEP_4)
	v_lshl_add_u32 v163, v58, 4, v134
	v_mul_u32_u24_e32 v58, 13, v130
	ds_store_b128 v163, v[136:139]
	ds_store_b128 v163, v[140:143] offset:16
	ds_store_b128 v163, v[148:151] offset:32
	;; [unrolled: 1-line block ×12, first 2 shown]
	scratch_store_b32 off, v58, off offset:1212 ; 4-byte Folded Spill
	s_and_saveexec_b32 s33, vcc_lo
	s_cbranch_execz .LBB0_7
; %bb.6:
	v_add_f64 v[42:43], v[14:15], v[42:43]
	v_add_f64 v[40:41], v[12:13], v[40:41]
	v_mul_f64 v[138:139], v[110:111], s[20:21]
	v_mul_f64 v[142:143], v[110:111], s[14:15]
	;; [unrolled: 1-line block ×5, first 2 shown]
	v_dual_mov_b32 v2, v161 :: v_dual_mov_b32 v3, v162
	v_mul_f64 v[161:162], v[104:105], s[20:21]
	v_mul_f64 v[166:167], v[102:103], s[42:43]
	;; [unrolled: 1-line block ×17, first 2 shown]
	v_add_f64 v[42:43], v[42:43], v[46:47]
	v_add_f64 v[40:41], v[40:41], v[44:45]
	v_mul_f64 v[44:45], v[122:123], s[0:1]
	v_mul_f64 v[46:47], v[120:121], s[30:31]
	v_fma_f64 v[140:141], v[114:115], s[12:13], v[138:139]
	v_fma_f64 v[138:139], v[114:115], s[42:43], v[138:139]
	;; [unrolled: 1-line block ×11, first 2 shown]
	v_fma_f64 v[166:167], v[98:99], s[20:21], -v[166:167]
	v_fma_f64 v[186:187], v[84:85], s[22:23], v[178:179]
	v_fma_f64 v[178:179], v[84:85], s[22:23], -v[178:179]
	v_fma_f64 v[188:189], v[84:85], s[18:19], v[180:181]
	v_fma_f64 v[180:181], v[84:85], s[18:19], -v[180:181]
	v_fma_f64 v[190:191], v[84:85], s[14:15], v[182:183]
	v_fma_f64 v[182:183], v[84:85], s[14:15], -v[182:183]
	v_fma_f64 v[198:199], v[94:95], s[30:31], v[196:197]
	v_fma_f64 v[196:197], v[94:95], s[44:45], v[196:197]
	v_fma_f64 v[202:203], v[94:95], s[34:35], v[200:201]
	;; [unrolled: 1-line block ×7, first 2 shown]
	v_fma_f64 v[212:213], v[80:81], s[22:23], -v[212:213]
	v_fma_f64 v[222:223], v[80:81], s[0:1], v[214:215]
	v_fma_f64 v[214:215], v[80:81], s[0:1], -v[214:215]
	v_fma_f64 v[230:231], v[76:77], s[24:25], v[228:229]
	v_fma_f64 v[228:229], v[76:77], s[36:37], v[228:229]
	;; [unrolled: 1-line block ×5, first 2 shown]
	v_add_f64 v[42:43], v[42:43], v[54:55]
	v_add_f64 v[40:41], v[40:41], v[52:53]
	v_mul_f64 v[52:53], v[120:121], s[28:29]
	v_mul_f64 v[54:55], v[120:121], s[26:27]
	v_add_f64 v[44:45], v[126:127], v[44:45]
	v_fma_f64 v[252:253], v[68:69], s[14:15], v[244:245]
	v_fma_f64 v[244:245], v[68:69], s[14:15], -v[244:245]
	v_fma_f64 v[254:255], v[68:69], s[16:17], v[246:247]
	v_fma_f64 v[246:247], v[68:69], s[16:17], -v[246:247]
	v_add_f64 v[42:43], v[42:43], v[50:51]
	v_add_f64 v[40:41], v[40:41], v[48:49]
	v_mul_f64 v[48:49], v[120:121], s[8:9]
	v_mul_f64 v[50:51], v[120:121], s[12:13]
	v_fma_f64 v[120:121], v[116:117], s[14:15], v[46:47]
	v_fma_f64 v[46:47], v[116:117], s[14:15], -v[46:47]
	v_fma_f64 v[126:127], v[116:117], s[22:23], v[52:53]
	v_fma_f64 v[52:53], v[116:117], s[22:23], -v[52:53]
	;; [unrolled: 2-line block ×3, first 2 shown]
	v_add_f64 v[38:39], v[42:43], v[38:39]
	v_add_f64 v[36:37], v[40:41], v[36:37]
	v_mul_f64 v[40:41], v[122:123], s[16:17]
	v_add_f64 v[46:47], v[12:13], v[46:47]
	v_add_f64 v[52:53], v[12:13], v[52:53]
	;; [unrolled: 1-line block ×5, first 2 shown]
	v_mul_f64 v[36:37], v[122:123], s[22:23]
	v_fma_f64 v[42:43], v[124:125], s[40:41], v[40:41]
	v_fma_f64 v[40:41], v[124:125], s[26:27], v[40:41]
	v_add_f64 v[52:53], v[182:183], v[52:53]
	v_add_f64 v[30:31], v[34:35], v[30:31]
	;; [unrolled: 1-line block ×3, first 2 shown]
	v_mul_f64 v[32:33], v[122:123], s[20:21]
	v_fma_f64 v[38:39], v[124:125], s[34:35], v[36:37]
	v_fma_f64 v[36:37], v[124:125], s[28:29], v[36:37]
	v_add_f64 v[42:43], v[14:15], v[42:43]
	v_add_f64 v[40:41], v[14:15], v[40:41]
	;; [unrolled: 1-line block ×5, first 2 shown]
	v_mul_f64 v[28:29], v[122:123], s[14:15]
	v_mul_f64 v[30:31], v[122:123], s[18:19]
	v_fma_f64 v[34:35], v[124:125], s[42:43], v[32:33]
	v_fma_f64 v[32:33], v[124:125], s[12:13], v[32:33]
	;; [unrolled: 1-line block ×3, first 2 shown]
	v_fma_f64 v[48:49], v[116:117], s[18:19], -v[48:49]
	v_add_f64 v[38:39], v[14:15], v[38:39]
	v_add_f64 v[36:37], v[14:15], v[36:37]
	;; [unrolled: 1-line block ×6, first 2 shown]
	v_fma_f64 v[24:25], v[124:125], s[44:45], v[28:29]
	v_fma_f64 v[26:27], v[124:125], s[30:31], v[28:29]
	;; [unrolled: 1-line block ×5, first 2 shown]
	v_fma_f64 v[50:51], v[116:117], s[20:21], -v[50:51]
	v_mul_f64 v[116:117], v[116:117], s[0:1]
	v_add_f64 v[34:35], v[14:15], v[34:35]
	v_add_f64 v[32:33], v[14:15], v[32:33]
	v_add_f64 v[48:49], v[12:13], v[48:49]
	v_add_f64 v[38:39], v[158:159], v[38:39]
	v_add_f64 v[36:37], v[156:157], v[36:37]
	v_add_f64 v[42:43], v[144:145], v[42:43]
	v_add_f64 v[52:53], v[246:247], v[52:53]
	v_add_f64 v[0:1], v[22:23], v[18:19]
	v_add_f64 v[24:25], v[14:15], v[24:25]
	v_add_f64 v[26:27], v[14:15], v[26:27]
	v_add_f64 v[28:29], v[14:15], v[28:29]
	v_add_f64 v[30:31], v[14:15], v[30:31]
	v_add_f64 v[14:15], v[14:15], v[44:45]
	v_mul_f64 v[44:45], v[110:111], s[16:17]
	v_add_f64 v[116:117], v[116:117], -v[118:119]
	v_add_f64 v[118:119], v[12:13], v[120:121]
	v_add_f64 v[120:121], v[12:13], v[122:123]
	;; [unrolled: 1-line block ×5, first 2 shown]
	v_mul_f64 v[128:129], v[110:111], s[0:1]
	v_add_f64 v[50:51], v[12:13], v[50:51]
	v_add_f64 v[48:49], v[178:179], v[48:49]
	v_add_f64 v[38:39], v[140:141], v[38:39]
	v_add_f64 v[34:35], v[154:155], v[34:35]
	v_add_f64 v[32:33], v[152:153], v[32:33]
	v_add_f64 v[36:37], v[138:139], v[36:37]
	v_add_f64 v[42:43], v[210:211], v[42:43]
	scratch_store_b64 off, v[0:1], off offset:20 ; 8-byte Folded Spill
	v_add_f64 v[0:1], v[20:21], v[16:17]
	v_mul_f64 v[20:21], v[110:111], s[18:19]
	v_mul_f64 v[110:111], v[110:111], s[22:23]
	v_dual_mov_b32 v16, v192 :: v_dual_mov_b32 v17, v193
	v_dual_mov_b32 v18, v194 :: v_dual_mov_b32 v19, v195
	v_add_f64 v[12:13], v[12:13], v[116:117]
	v_fma_f64 v[116:117], v[114:115], s[40:41], v[44:45]
	v_fma_f64 v[44:45], v[114:115], s[26:27], v[44:45]
	v_add_f64 v[30:31], v[148:149], v[30:31]
	v_mul_f64 v[148:149], v[64:65], s[0:1]
	v_add_f64 v[28:29], v[150:151], v[28:29]
	v_fma_f64 v[136:137], v[114:115], s[24:25], v[128:129]
	v_fma_f64 v[128:129], v[114:115], s[36:37], v[128:129]
	v_add_f64 v[50:51], v[180:181], v[50:51]
	v_add_f64 v[38:39], v[206:207], v[38:39]
	;; [unrolled: 1-line block ×3, first 2 shown]
	scratch_store_b64 off, v[0:1], off offset:268 ; 8-byte Folded Spill
	v_fma_f64 v[22:23], v[114:115], s[38:39], v[20:21]
	v_fma_f64 v[20:21], v[114:115], s[8:9], v[20:21]
	;; [unrolled: 1-line block ×3, first 2 shown]
	v_mul_f64 v[142:143], v[104:105], s[0:1]
	v_mul_f64 v[104:105], v[104:105], s[16:17]
	v_add_f64 v[110:111], v[112:113], v[110:111]
	v_mul_f64 v[112:113], v[102:103], s[26:27]
	v_fma_f64 v[0:1], v[76:77], s[40:41], v[236:237]
	v_fma_f64 v[236:237], v[76:77], s[26:27], v[236:237]
	v_add_f64 v[30:31], v[44:45], v[30:31]
	v_fma_f64 v[150:151], v[66:67], s[24:25], v[148:149]
	v_add_f64 v[28:29], v[116:117], v[28:29]
	v_add_f64 v[34:35], v[136:137], v[34:35]
	;; [unrolled: 1-line block ×3, first 2 shown]
	v_fma_f64 v[146:147], v[108:109], s[24:25], v[142:143]
	v_fma_f64 v[142:143], v[108:109], s[36:37], v[142:143]
	;; [unrolled: 1-line block ×3, first 2 shown]
	v_add_f64 v[104:105], v[106:107], v[104:105]
	v_mul_f64 v[106:107], v[102:103], s[8:9]
	v_mul_f64 v[161:162], v[102:103], s[36:37]
	;; [unrolled: 1-line block ×3, first 2 shown]
	v_fma_f64 v[170:171], v[98:99], s[16:17], v[112:113]
	v_fma_f64 v[112:113], v[98:99], s[16:17], -v[112:113]
	v_add_f64 v[34:35], v[202:203], v[34:35]
	v_add_f64 v[30:31], v[196:197], v[30:31]
	;; [unrolled: 1-line block ×9, first 2 shown]
	v_fma_f64 v[168:169], v[98:99], s[18:19], v[106:107]
	v_fma_f64 v[106:107], v[98:99], s[18:19], -v[106:107]
	v_fma_f64 v[172:173], v[98:99], s[0:1], v[161:162]
	v_fma_f64 v[161:162], v[98:99], s[0:1], -v[161:162]
	;; [unrolled: 2-line block ×3, first 2 shown]
	v_mul_f64 v[98:99], v[98:99], s[22:23]
	v_add_f64 v[44:45], v[112:113], v[48:49]
	v_add_f64 v[14:15], v[104:105], v[14:15]
	v_mul_f64 v[124:125], v[64:65], s[16:17]
	v_mul_f64 v[142:143], v[64:65], s[18:19]
	v_add_f64 v[34:35], v[234:235], v[34:35]
	v_add_f64 v[30:31], v[228:229], v[30:31]
	;; [unrolled: 1-line block ×8, first 2 shown]
	v_add_f64 v[98:99], v[98:99], -v[100:101]
	v_mul_f64 v[100:101], v[90:91], s[36:37]
	v_mul_f64 v[90:91], v[90:91], s[12:13]
	v_add_f64 v[14:15], v[110:111], v[14:15]
	v_fma_f64 v[146:147], v[66:67], s[38:39], v[142:143]
	v_fma_f64 v[142:143], v[66:67], s[8:9], v[142:143]
	v_add_f64 v[50:51], v[212:213], v[50:51]
	v_fma_f64 v[184:185], v[84:85], s[0:1], v[100:101]
	v_fma_f64 v[100:101], v[84:85], s[0:1], -v[100:101]
	v_fma_f64 v[192:193], v[84:85], s[20:21], v[90:91]
	v_fma_f64 v[90:91], v[84:85], s[20:21], -v[90:91]
	v_mul_f64 v[84:85], v[84:85], s[16:17]
	v_add_f64 v[50:51], v[244:245], v[50:51]
	v_add_f64 v[46:47], v[100:101], v[46:47]
	;; [unrolled: 1-line block ×4, first 2 shown]
	v_add_f64 v[84:85], v[84:85], -v[86:87]
	v_mul_f64 v[86:87], v[92:93], s[16:17]
	v_mul_f64 v[92:93], v[92:93], s[20:21]
	v_add_f64 v[90:91], v[188:189], v[122:123]
	v_mul_f64 v[120:121], v[64:65], s[20:21]
	v_add_f64 v[26:27], v[106:107], v[46:47]
	v_add_f64 v[46:47], v[170:171], v[100:101]
	;; [unrolled: 1-line block ×4, first 2 shown]
	v_fma_f64 v[194:195], v[94:95], s[26:27], v[86:87]
	v_fma_f64 v[86:87], v[94:95], s[40:41], v[86:87]
	;; [unrolled: 1-line block ×3, first 2 shown]
	v_add_f64 v[92:93], v[96:97], v[92:93]
	v_mul_f64 v[96:97], v[88:89], s[40:41]
	v_mul_f64 v[208:209], v[88:89], s[44:45]
	;; [unrolled: 1-line block ×4, first 2 shown]
	v_add_f64 v[54:55], v[172:173], v[90:91]
	v_mul_f64 v[64:65], v[64:65], s[14:15]
	v_fma_f64 v[122:123], v[66:67], s[42:43], v[120:121]
	v_fma_f64 v[120:121], v[66:67], s[12:13], v[120:121]
	v_add_f64 v[12:13], v[98:99], v[12:13]
	v_add_f64 v[22:23], v[194:195], v[22:23]
	;; [unrolled: 1-line block ×3, first 2 shown]
	v_mul_f64 v[86:87], v[60:61], s[12:13]
	v_add_f64 v[14:15], v[92:93], v[14:15]
	v_fma_f64 v[216:217], v[80:81], s[16:17], v[96:97]
	v_fma_f64 v[96:97], v[80:81], s[16:17], -v[96:97]
	v_fma_f64 v[218:219], v[80:81], s[14:15], v[208:209]
	v_fma_f64 v[208:209], v[80:81], s[14:15], -v[208:209]
	v_fma_f64 v[224:225], v[80:81], s[18:19], v[88:89]
	v_fma_f64 v[88:89], v[80:81], s[18:19], -v[88:89]
	v_mul_f64 v[80:81], v[80:81], s[20:21]
	v_add_f64 v[62:63], v[62:63], v[64:65]
	v_add_f64 v[40:41], v[94:95], v[40:41]
	;; [unrolled: 1-line block ×3, first 2 shown]
	v_fma_f64 v[104:105], v[66:67], s[28:29], v[84:85]
	v_fma_f64 v[84:85], v[66:67], s[34:35], v[84:85]
	;; [unrolled: 1-line block ×3, first 2 shown]
	v_fma_f64 v[86:87], v[56:57], s[20:21], -v[86:87]
	v_add_f64 v[26:27], v[96:97], v[26:27]
	v_add_f64 v[46:47], v[218:219], v[46:47]
	;; [unrolled: 1-line block ×4, first 2 shown]
	v_add_f64 v[80:81], v[80:81], -v[82:83]
	v_mul_f64 v[82:83], v[74:75], s[20:21]
	v_mul_f64 v[74:75], v[74:75], s[18:19]
	;; [unrolled: 1-line block ×3, first 2 shown]
	v_add_f64 v[54:55], v[252:253], v[54:55]
	v_add_f64 v[12:13], v[80:81], v[12:13]
	v_fma_f64 v[226:227], v[76:77], s[42:43], v[82:83]
	v_fma_f64 v[82:83], v[76:77], s[12:13], v[82:83]
	;; [unrolled: 1-line block ×3, first 2 shown]
	v_add_f64 v[74:75], v[78:79], v[74:75]
	v_mul_f64 v[78:79], v[72:73], s[12:13]
	v_mul_f64 v[240:241], v[72:73], s[36:37]
	;; [unrolled: 1-line block ×4, first 2 shown]
	v_fma_f64 v[96:97], v[56:57], s[16:17], v[88:89]
	v_fma_f64 v[88:89], v[56:57], s[16:17], -v[88:89]
	v_add_f64 v[22:23], v[226:227], v[22:23]
	v_add_f64 v[20:21], v[82:83], v[20:21]
	;; [unrolled: 1-line block ×4, first 2 shown]
	v_fma_f64 v[248:249], v[68:69], s[20:21], v[78:79]
	v_fma_f64 v[78:79], v[68:69], s[20:21], -v[78:79]
	v_fma_f64 v[58:59], v[68:69], s[22:23], v[72:73]
	v_fma_f64 v[72:73], v[68:69], s[22:23], -v[72:73]
	;; [unrolled: 2-line block ×3, first 2 shown]
	v_mul_f64 v[68:69], v[68:69], s[18:19]
	v_fma_f64 v[92:93], v[56:57], s[22:23], v[80:81]
	v_fma_f64 v[80:81], v[56:57], s[22:23], -v[80:81]
	v_add_f64 v[26:27], v[78:79], v[26:27]
	v_add_f64 v[48:49], v[72:73], v[48:49]
	;; [unrolled: 1-line block ×3, first 2 shown]
	scratch_load_b64 v[0:1], off, off offset:20 ; 8-byte Folded Reload
	v_add_f64 v[68:69], v[68:69], -v[70:71]
	v_add_f64 v[70:71], v[184:185], v[118:119]
	v_add_f64 v[118:119], v[192:193], v[126:127]
	v_fma_f64 v[126:127], v[66:67], s[26:27], v[124:125]
	v_fma_f64 v[124:125], v[66:67], s[40:41], v[124:125]
	;; [unrolled: 1-line block ×3, first 2 shown]
	v_add_f64 v[44:45], v[240:241], v[44:45]
	v_add_f64 v[46:47], v[250:251], v[46:47]
	v_dual_mov_b32 v195, v19 :: v_dual_mov_b32 v194, v18
	v_dual_mov_b32 v193, v17 :: v_dual_mov_b32 v192, v16
	v_add_f64 v[18:19], v[122:123], v[28:29]
	v_add_f64 v[28:29], v[88:89], v[50:51]
	;; [unrolled: 1-line block ×16, first 2 shown]
	v_mul_f64 v[90:91], v[60:61], s[8:9]
	v_mul_f64 v[60:61], v[60:61], s[36:37]
	v_add_f64 v[24:25], v[248:249], v[24:25]
	v_add_f64 v[64:65], v[254:255], v[64:65]
	;; [unrolled: 1-line block ×4, first 2 shown]
	v_fma_f64 v[98:99], v[56:57], s[18:19], v[90:91]
	v_fma_f64 v[90:91], v[56:57], s[18:19], -v[90:91]
	v_fma_f64 v[100:101], v[56:57], s[0:1], v[60:61]
	v_fma_f64 v[60:61], v[56:57], s[0:1], -v[60:61]
	v_mul_f64 v[56:57], v[56:57], s[14:15]
	v_add_f64 v[14:15], v[84:85], v[20:21]
	v_add_f64 v[20:21], v[86:87], v[44:45]
	;; [unrolled: 1-line block ×6, first 2 shown]
	v_add_f64 v[56:57], v[56:57], -v[2:3]
	s_delay_alu instid0(VALU_DEP_1)
	v_add_f64 v[48:49], v[56:57], v[68:69]
	s_waitcnt vmcnt(0)
	v_add_f64 v[74:75], v[0:1], v[10:11]
	scratch_load_b64 v[0:1], off, off offset:268 ; 8-byte Folded Reload
	v_add_f64 v[10:11], v[104:105], v[22:23]
	v_add_f64 v[22:23], v[120:121], v[30:31]
	;; [unrolled: 1-line block ×4, first 2 shown]
	v_mul_u32_u24_e32 v52, 13, v130
	s_delay_alu instid0(VALU_DEP_1)
	v_lshl_add_u32 v52, v52, 4, v134
	v_add_f64 v[6:7], v[74:75], v[6:7]
	s_waitcnt vmcnt(0)
	v_add_f64 v[78:79], v[0:1], v[8:9]
	v_add_f64 v[8:9], v[92:93], v[24:25]
	v_add_f64 v[24:25], v[96:97], v[54:55]
	s_delay_alu instid0(VALU_DEP_3)
	v_add_f64 v[4:5], v[78:79], v[4:5]
	ds_store_b128 v52, v[36:39] offset:32
	ds_store_b128 v52, v[32:35] offset:48
	;; [unrolled: 1-line block ×11, first 2 shown]
	ds_store_b128 v52, v[4:7]
	ds_store_b128 v52, v[192:195] offset:192
.LBB0_7:
	s_or_b32 exec_lo, exec_lo, s33
	scratch_load_b64 v[111:112], off, off   ; 8-byte Folded Reload
	v_and_b32_e32 v5, 0xff, v130
	s_waitcnt vmcnt(0) lgkmcnt(0)
	s_waitcnt_vscnt null, 0x0
	s_barrier
	buffer_gl0_inv
	s_mov_b32 s0, 0x134454ff
	v_mul_lo_u16 v5, 0x4f, v5
	s_mov_b32 s1, 0x3fee6f0e
	s_mov_b32 s9, 0xbfee6f0e
	;; [unrolled: 1-line block ×4, first 2 shown]
	v_lshrrev_b16 v84, 10, v5
	s_mov_b32 s13, 0x3fe2cf23
	s_mov_b32 s15, 0xbfe2cf23
	;; [unrolled: 1-line block ×4, first 2 shown]
	v_mul_lo_u16 v5, v84, 13
	s_mov_b32 s17, 0x3fd3c6ef
	s_delay_alu instid0(VALU_DEP_1) | instskip(NEXT) | instid1(VALU_DEP_1)
	v_sub_nc_u16 v5, v130, v5
	v_and_b32_e32 v85, 0xff, v5
	s_delay_alu instid0(VALU_DEP_1) | instskip(SKIP_3) | instid1(VALU_DEP_3)
	v_lshlrev_b32_e32 v5, 6, v85
	v_and_b32_e32 v4, 0xff, v111
	v_add_co_u32 v112, s18, 0x4e, v111
	v_add_co_u32 v110, s20, 0x9c, v111
	v_mul_lo_u16 v4, 0x4f, v4
	s_delay_alu instid0(VALU_DEP_1) | instskip(NEXT) | instid1(VALU_DEP_1)
	v_lshrrev_b16 v88, 10, v4
	v_mul_lo_u16 v4, v88, 13
	s_delay_alu instid0(VALU_DEP_1) | instskip(NEXT) | instid1(VALU_DEP_1)
	v_sub_nc_u16 v4, v111, v4
	v_and_b32_e32 v89, 0xff, v4
	s_delay_alu instid0(VALU_DEP_1)
	v_lshlrev_b32_e32 v4, 6, v89
	s_clause 0x5
	global_load_b128 v[62:65], v4, s[2:3]
	global_load_b128 v[58:61], v5, s[2:3]
	global_load_b128 v[66:69], v4, s[2:3] offset:16
	global_load_b128 v[70:73], v5, s[2:3] offset:16
	;; [unrolled: 1-line block ×4, first 2 shown]
	v_and_b32_e32 v4, 0xff, v112
	s_clause 0x1
	global_load_b128 v[117:120], v5, s[2:3] offset:32
	global_load_b128 v[113:116], v5, s[2:3] offset:48
	v_mul_lo_u16 v4, 0x4f, v4
	s_delay_alu instid0(VALU_DEP_1) | instskip(NEXT) | instid1(VALU_DEP_1)
	v_lshrrev_b16 v86, 10, v4
	v_mul_lo_u16 v4, v86, 13
	s_delay_alu instid0(VALU_DEP_1) | instskip(NEXT) | instid1(VALU_DEP_1)
	v_sub_nc_u16 v4, v112, v4
	v_and_b32_e32 v87, 0xff, v4
	s_delay_alu instid0(VALU_DEP_1)
	v_lshlrev_b32_e32 v4, 6, v87
	s_clause 0x3
	global_load_b128 v[102:105], v4, s[2:3]
	global_load_b128 v[98:101], v4, s[2:3] offset:16
	global_load_b128 v[94:97], v4, s[2:3] offset:32
	;; [unrolled: 1-line block ×3, first 2 shown]
	ds_load_b128 v[4:7], v160 offset:3120
	ds_load_b128 v[12:15], v160 offset:3744
	;; [unrolled: 1-line block ×7, first 2 shown]
	s_waitcnt vmcnt(11) lgkmcnt(6)
	v_mul_f64 v[8:9], v[6:7], v[64:65]
	v_mul_f64 v[36:37], v[4:5], v[64:65]
	s_waitcnt vmcnt(10) lgkmcnt(5)
	v_mul_f64 v[40:41], v[14:15], v[60:61]
	v_mul_f64 v[42:43], v[12:13], v[60:61]
	;; [unrolled: 3-line block ×3, first 2 shown]
	s_waitcnt vmcnt(7)
	scratch_store_b128 off, v[74:77], off offset:412 ; 16-byte Folded Spill
	s_waitcnt vmcnt(6)
	s_clause 0x4
	scratch_store_b128 off, v[106:109], off offset:396
	scratch_store_b128 off, v[62:65], off offset:284
	;; [unrolled: 1-line block ×5, first 2 shown]
	s_waitcnt vmcnt(5)
	scratch_store_b128 off, v[117:120], off offset:444 ; 16-byte Folded Spill
	s_waitcnt vmcnt(4)
	scratch_store_b128 off, v[113:116], off offset:428 ; 16-byte Folded Spill
	;; [unrolled: 2-line block ×4, first 2 shown]
	v_fma_f64 v[10:11], v[4:5], v[62:63], -v[8:9]
	v_fma_f64 v[8:9], v[6:7], v[62:63], v[36:37]
	v_fma_f64 v[6:7], v[12:13], v[58:59], -v[40:41]
	v_fma_f64 v[4:5], v[14:15], v[58:59], v[42:43]
	;; [unrolled: 2-line block ×3, first 2 shown]
	ds_load_b128 v[16:19], v160 offset:4368
	s_waitcnt lgkmcnt(4)
	v_mul_f64 v[48:49], v[22:23], v[72:73]
	v_mul_f64 v[52:53], v[20:21], v[72:73]
	ds_load_b128 v[36:39], v160 offset:13104
	s_waitcnt lgkmcnt(3)
	v_mul_f64 v[40:41], v[30:31], v[108:109]
	v_mul_f64 v[42:43], v[28:29], v[108:109]
	v_add_co_u32 v108, s19, 0x75, v111
	s_waitcnt vmcnt(1)
	scratch_store_b128 off, v[94:97], off offset:316 ; 16-byte Folded Spill
	s_waitcnt vmcnt(0)
	scratch_store_b128 off, v[90:93], off offset:300 ; 16-byte Folded Spill
	v_add_f64 v[126:127], v[14:15], -v[10:11]
	v_fma_f64 v[50:51], v[20:21], v[70:71], -v[48:49]
	v_fma_f64 v[44:45], v[22:23], v[70:71], v[52:53]
	ds_load_b128 v[20:23], v160 offset:7488
	v_mul_f64 v[54:55], v[26:27], v[76:77]
	v_mul_f64 v[56:57], v[24:25], v[76:77]
	v_fma_f64 v[82:83], v[28:29], v[106:107], -v[40:41]
	v_fma_f64 v[80:81], v[30:31], v[106:107], v[42:43]
	s_waitcnt lgkmcnt(2)
	v_mul_f64 v[28:29], v[18:19], v[104:105]
	v_mul_f64 v[30:31], v[16:17], v[104:105]
	v_fma_f64 v[78:79], v[24:25], v[74:75], -v[54:55]
	v_fma_f64 v[76:77], v[26:27], v[74:75], v[56:57]
	s_waitcnt lgkmcnt(1)
	v_mul_f64 v[24:25], v[38:39], v[115:116]
	v_mul_f64 v[26:27], v[36:37], v[115:116]
	v_fma_f64 v[54:55], v[16:17], v[102:103], -v[28:29]
	v_fma_f64 v[52:53], v[18:19], v[102:103], v[30:31]
	ds_load_b128 v[16:19], v160 offset:10608
	v_mul_f64 v[58:59], v[32:33], v[119:120]
	v_mul_f64 v[46:47], v[34:35], v[119:120]
	v_and_b32_e32 v119, 0xff, v108
	v_add_f64 v[115:116], v[8:9], -v[80:81]
	v_add_f64 v[122:123], v[10:11], -v[82:83]
	v_add_f64 v[124:125], v[14:15], -v[78:79]
	v_add_f64 v[120:121], v[12:13], -v[76:77]
	v_fma_f64 v[72:73], v[36:37], v[113:114], -v[24:25]
	v_fma_f64 v[74:75], v[38:39], v[113:114], v[26:27]
	s_waitcnt lgkmcnt(1)
	v_mul_f64 v[24:25], v[22:23], v[100:101]
	v_mul_f64 v[26:27], v[20:21], v[100:101]
	v_fma_f64 v[68:69], v[34:35], v[117:118], v[58:59]
	v_fma_f64 v[70:71], v[32:33], v[117:118], -v[46:47]
	v_and_b32_e32 v118, 0xff, v110
	v_fma_f64 v[62:63], v[20:21], v[98:99], -v[24:25]
	v_fma_f64 v[58:59], v[22:23], v[98:99], v[26:27]
	s_waitcnt lgkmcnt(0)
	v_mul_f64 v[20:21], v[18:19], v[96:97]
	v_mul_f64 v[22:23], v[16:17], v[96:97]
	v_add_f64 v[128:129], v[50:51], -v[70:71]
	s_delay_alu instid0(VALU_DEP_3) | instskip(NEXT) | instid1(VALU_DEP_3)
	v_fma_f64 v[60:61], v[16:17], v[94:95], -v[20:21]
	v_fma_f64 v[56:57], v[18:19], v[94:95], v[22:23]
	ds_load_b128 v[16:19], v160 offset:13728
	s_waitcnt lgkmcnt(0)
	v_mul_f64 v[20:21], v[18:19], v[92:93]
	v_add_f64 v[144:145], v[62:63], -v[60:61]
	s_delay_alu instid0(VALU_DEP_2) | instskip(SKIP_1) | instid1(VALU_DEP_1)
	v_fma_f64 v[64:65], v[16:17], v[90:91], -v[20:21]
	v_mul_f64 v[16:17], v[16:17], v[92:93]
	v_fma_f64 v[66:67], v[18:19], v[90:91], v[16:17]
	v_mul_lo_u16 v16, 0x4f, v119
	s_delay_alu instid0(VALU_DEP_1) | instskip(NEXT) | instid1(VALU_DEP_1)
	v_lshrrev_b16 v90, 10, v16
	v_mul_lo_u16 v16, v90, 13
	s_delay_alu instid0(VALU_DEP_1) | instskip(NEXT) | instid1(VALU_DEP_1)
	v_sub_nc_u16 v16, v108, v16
	v_and_b32_e32 v91, 0xff, v16
	ds_load_b128 v[16:19], v160 offset:4992
	v_lshlrev_b32_e32 v32, 6, v91
	s_clause 0x1
	global_load_b128 v[24:27], v32, s[2:3]
	global_load_b128 v[33:36], v32, s[2:3] offset:32
	s_waitcnt vmcnt(1) lgkmcnt(0)
	v_mul_f64 v[20:21], v[18:19], v[26:27]
	scratch_store_b128 off, v[24:27], off offset:496 ; 16-byte Folded Spill
	s_waitcnt vmcnt(0)
	scratch_store_b128 off, v[33:36], off offset:528 ; 16-byte Folded Spill
	v_fma_f64 v[22:23], v[16:17], v[24:25], -v[20:21]
	v_mul_f64 v[16:17], v[16:17], v[26:27]
	global_load_b128 v[26:29], v32, s[2:3] offset:16
	v_fma_f64 v[20:21], v[18:19], v[24:25], v[16:17]
	ds_load_b128 v[16:19], v160 offset:8112
	s_waitcnt vmcnt(0) lgkmcnt(0)
	v_mul_f64 v[24:25], v[18:19], v[28:29]
	scratch_store_b128 off, v[26:29], off offset:544 ; 16-byte Folded Spill
	v_fma_f64 v[24:25], v[16:17], v[26:27], -v[24:25]
	v_mul_f64 v[16:17], v[16:17], v[28:29]
	s_delay_alu instid0(VALU_DEP_1) | instskip(SKIP_3) | instid1(VALU_DEP_1)
	v_fma_f64 v[26:27], v[18:19], v[26:27], v[16:17]
	ds_load_b128 v[16:19], v160 offset:11232
	s_waitcnt lgkmcnt(0)
	v_mul_f64 v[28:29], v[18:19], v[35:36]
	v_fma_f64 v[30:31], v[16:17], v[33:34], -v[28:29]
	v_mul_f64 v[16:17], v[16:17], v[35:36]
	s_delay_alu instid0(VALU_DEP_1)
	v_fma_f64 v[28:29], v[18:19], v[33:34], v[16:17]
	global_load_b128 v[34:37], v32, s[2:3] offset:48
	ds_load_b128 v[16:19], v160 offset:14352
	s_waitcnt vmcnt(0) lgkmcnt(0)
	v_mul_f64 v[32:33], v[18:19], v[36:37]
	scratch_store_b128 off, v[34:37], off offset:560 ; 16-byte Folded Spill
	v_fma_f64 v[40:41], v[16:17], v[34:35], -v[32:33]
	v_mul_f64 v[16:17], v[16:17], v[36:37]
	s_delay_alu instid0(VALU_DEP_1) | instskip(SKIP_3) | instid1(VALU_DEP_1)
	v_fma_f64 v[42:43], v[18:19], v[34:35], v[16:17]
	v_mul_lo_u16 v16, 0x4f, v118
	ds_load_b128 v[32:35], v160 offset:5616
	v_lshrrev_b16 v92, 10, v16
	v_mul_lo_u16 v16, v92, 13
	s_delay_alu instid0(VALU_DEP_1) | instskip(NEXT) | instid1(VALU_DEP_1)
	v_sub_nc_u16 v16, v110, v16
	v_and_b32_e32 v93, 0xff, v16
	s_delay_alu instid0(VALU_DEP_1)
	v_lshlrev_b32_e32 v94, 6, v93
	s_clause 0x2
	global_load_b128 v[36:39], v94, s[2:3]
	global_load_b128 v[46:49], v94, s[2:3] offset:16
	global_load_b128 v[95:98], v94, s[2:3] offset:32
	s_waitcnt vmcnt(2) lgkmcnt(0)
	v_mul_f64 v[16:17], v[34:35], v[38:39]
	scratch_store_b128 off, v[36:39], off offset:576 ; 16-byte Folded Spill
	s_waitcnt vmcnt(1)
	scratch_store_b128 off, v[46:49], off offset:512 ; 16-byte Folded Spill
	s_waitcnt vmcnt(0)
	scratch_store_b128 off, v[95:98], off offset:480 ; 16-byte Folded Spill
	v_fma_f64 v[18:19], v[32:33], v[36:37], -v[16:17]
	v_mul_f64 v[16:17], v[32:33], v[38:39]
	s_delay_alu instid0(VALU_DEP_1) | instskip(SKIP_3) | instid1(VALU_DEP_1)
	v_fma_f64 v[16:17], v[34:35], v[36:37], v[16:17]
	ds_load_b128 v[34:37], v160 offset:8736
	s_waitcnt lgkmcnt(0)
	v_mul_f64 v[32:33], v[36:37], v[48:49]
	v_fma_f64 v[32:33], v[34:35], v[46:47], -v[32:33]
	v_mul_f64 v[34:35], v[34:35], v[48:49]
	s_delay_alu instid0(VALU_DEP_1) | instskip(SKIP_3) | instid1(VALU_DEP_1)
	v_fma_f64 v[34:35], v[36:37], v[46:47], v[34:35]
	ds_load_b128 v[46:49], v160 offset:11856
	s_waitcnt lgkmcnt(0)
	v_mul_f64 v[36:37], v[48:49], v[97:98]
	v_fma_f64 v[38:39], v[46:47], v[95:96], -v[36:37]
	v_mul_f64 v[36:37], v[46:47], v[97:98]
	global_load_b128 v[98:101], v94, s[2:3] offset:48
	v_fma_f64 v[36:37], v[48:49], v[95:96], v[36:37]
	ds_load_b128 v[94:97], v160 offset:14976
	s_waitcnt vmcnt(0) lgkmcnt(0)
	v_mul_f64 v[46:47], v[96:97], v[100:101]
	v_mul_f64 v[48:49], v[94:95], v[100:101]
	scratch_store_b128 off, v[98:101], off offset:464 ; 16-byte Folded Spill
	v_fma_f64 v[46:47], v[94:95], v[98:99], -v[46:47]
	v_fma_f64 v[48:49], v[96:97], v[98:99], v[48:49]
	v_add_f64 v[94:95], v[10:11], -v[14:15]
	v_add_f64 v[96:97], v[82:83], -v[78:79]
	v_add_f64 v[98:99], v[14:15], v[78:79]
	s_delay_alu instid0(VALU_DEP_2) | instskip(SKIP_2) | instid1(VALU_DEP_1)
	v_add_f64 v[102:103], v[94:95], v[96:97]
	v_add_f64 v[94:95], v[8:9], -v[12:13]
	v_add_f64 v[96:97], v[80:81], -v[76:77]
	v_add_f64 v[104:105], v[94:95], v[96:97]
	ds_load_b128 v[94:97], v160
	s_waitcnt lgkmcnt(0)
	v_fma_f64 v[106:107], v[98:99], -0.5, v[94:95]
	v_add_f64 v[98:99], v[12:13], v[76:77]
	s_delay_alu instid0(VALU_DEP_1) | instskip(NEXT) | instid1(VALU_DEP_3)
	v_fma_f64 v[113:114], v[98:99], -0.5, v[96:97]
	v_fma_f64 v[98:99], v[115:116], s[0:1], v[106:107]
	v_fma_f64 v[106:107], v[115:116], s[8:9], v[106:107]
	s_delay_alu instid0(VALU_DEP_3) | instskip(SKIP_1) | instid1(VALU_DEP_4)
	v_fma_f64 v[100:101], v[122:123], s[8:9], v[113:114]
	v_fma_f64 v[113:114], v[122:123], s[0:1], v[113:114]
	;; [unrolled: 1-line block ×3, first 2 shown]
	s_delay_alu instid0(VALU_DEP_4) | instskip(NEXT) | instid1(VALU_DEP_4)
	v_fma_f64 v[106:107], v[120:121], s[14:15], v[106:107]
	v_fma_f64 v[100:101], v[124:125], s[14:15], v[100:101]
	s_delay_alu instid0(VALU_DEP_4) | instskip(NEXT) | instid1(VALU_DEP_4)
	v_fma_f64 v[113:114], v[124:125], s[12:13], v[113:114]
	v_fma_f64 v[98:99], v[102:103], s[16:17], v[98:99]
	s_delay_alu instid0(VALU_DEP_4) | instskip(SKIP_4) | instid1(VALU_DEP_4)
	v_fma_f64 v[102:103], v[102:103], s[16:17], v[106:107]
	v_add_f64 v[106:107], v[10:11], v[82:83]
	v_fma_f64 v[100:101], v[104:105], s[16:17], v[100:101]
	v_fma_f64 v[104:105], v[104:105], s[16:17], v[113:114]
	v_add_f64 v[113:114], v[8:9], v[80:81]
	v_fma_f64 v[106:107], v[106:107], -0.5, v[94:95]
	v_add_f64 v[94:95], v[94:95], v[10:11]
	s_delay_alu instid0(VALU_DEP_3) | instskip(SKIP_1) | instid1(VALU_DEP_3)
	v_fma_f64 v[113:114], v[113:114], -0.5, v[96:97]
	v_add_f64 v[96:97], v[96:97], v[8:9]
	v_add_f64 v[10:11], v[94:95], v[14:15]
	s_delay_alu instid0(VALU_DEP_3) | instskip(NEXT) | instid1(VALU_DEP_3)
	v_fma_f64 v[94:95], v[124:125], s[8:9], v[113:114]
	v_add_f64 v[14:15], v[96:97], v[12:13]
	v_add_f64 v[12:13], v[12:13], -v[8:9]
	s_delay_alu instid0(VALU_DEP_4) | instskip(NEXT) | instid1(VALU_DEP_3)
	v_add_f64 v[8:9], v[10:11], v[78:79]
	v_add_f64 v[10:11], v[14:15], v[76:77]
	v_add_f64 v[14:15], v[78:79], -v[82:83]
	s_delay_alu instid0(VALU_DEP_3)
	v_add_f64 v[8:9], v[8:9], v[82:83]
	v_add_f64 v[76:77], v[76:77], -v[80:81]
	v_fma_f64 v[78:79], v[120:121], s[8:9], v[106:107]
	v_fma_f64 v[82:83], v[124:125], s[0:1], v[113:114]
	v_add_f64 v[124:125], v[44:45], -v[68:69]
	v_add_f64 v[10:11], v[10:11], v[80:81]
	v_fma_f64 v[80:81], v[120:121], s[0:1], v[106:107]
	v_add_f64 v[96:97], v[126:127], v[14:15]
	v_add_f64 v[106:107], v[12:13], v[76:77]
	v_fma_f64 v[12:13], v[115:116], s[12:13], v[78:79]
	v_fma_f64 v[14:15], v[122:123], s[14:15], v[82:83]
	;; [unrolled: 1-line block ×3, first 2 shown]
	v_add_f64 v[82:83], v[72:73], -v[70:71]
	v_add_f64 v[94:95], v[50:51], v[70:71]
	v_add_f64 v[122:123], v[4:5], -v[74:75]
	v_add_f64 v[126:127], v[6:7], -v[72:73]
	v_fma_f64 v[76:77], v[115:116], s[14:15], v[80:81]
	v_add_f64 v[80:81], v[6:7], -v[50:51]
	v_fma_f64 v[12:13], v[96:97], s[16:17], v[12:13]
	v_fma_f64 v[14:15], v[106:107], s[16:17], v[14:15]
	;; [unrolled: 1-line block ×4, first 2 shown]
	v_add_f64 v[106:107], v[80:81], v[82:83]
	v_add_f64 v[80:81], v[4:5], -v[44:45]
	v_add_f64 v[82:83], v[74:75], -v[68:69]
	s_delay_alu instid0(VALU_DEP_1) | instskip(SKIP_4) | instid1(VALU_DEP_1)
	v_add_f64 v[115:116], v[80:81], v[82:83]
	ds_load_b128 v[80:83], v160 offset:624
	s_waitcnt lgkmcnt(0)
	v_fma_f64 v[113:114], v[94:95], -0.5, v[80:81]
	v_add_f64 v[94:95], v[44:45], v[68:69]
	v_fma_f64 v[120:121], v[94:95], -0.5, v[82:83]
	s_delay_alu instid0(VALU_DEP_3) | instskip(SKIP_1) | instid1(VALU_DEP_3)
	v_fma_f64 v[94:95], v[122:123], s[0:1], v[113:114]
	v_fma_f64 v[113:114], v[122:123], s[8:9], v[113:114]
	;; [unrolled: 1-line block ×4, first 2 shown]
	s_delay_alu instid0(VALU_DEP_4) | instskip(NEXT) | instid1(VALU_DEP_4)
	v_fma_f64 v[94:95], v[124:125], s[12:13], v[94:95]
	v_fma_f64 v[113:114], v[124:125], s[14:15], v[113:114]
	s_delay_alu instid0(VALU_DEP_4) | instskip(NEXT) | instid1(VALU_DEP_4)
	v_fma_f64 v[96:97], v[128:129], s[14:15], v[96:97]
	v_fma_f64 v[120:121], v[128:129], s[12:13], v[120:121]
	;; [unrolled: 3-line block ×3, first 2 shown]
	v_add_f64 v[106:107], v[6:7], v[72:73]
	v_fma_f64 v[96:97], v[115:116], s[16:17], v[96:97]
	v_fma_f64 v[115:116], v[115:116], s[16:17], v[120:121]
	v_add_f64 v[120:121], v[4:5], v[74:75]
	s_delay_alu instid0(VALU_DEP_4) | instskip(SKIP_2) | instid1(VALU_DEP_4)
	v_fma_f64 v[106:107], v[106:107], -0.5, v[80:81]
	v_add_f64 v[80:81], v[80:81], v[6:7]
	v_add_f64 v[6:7], v[50:51], -v[6:7]
	v_fma_f64 v[120:121], v[120:121], -0.5, v[82:83]
	v_add_f64 v[82:83], v[82:83], v[4:5]
	v_add_f64 v[4:5], v[44:45], -v[4:5]
	v_add_f64 v[50:51], v[80:81], v[50:51]
	s_delay_alu instid0(VALU_DEP_3) | instskip(SKIP_1) | instid1(VALU_DEP_3)
	v_add_f64 v[80:81], v[82:83], v[44:45]
	v_fma_f64 v[82:83], v[128:129], s[8:9], v[120:121]
	v_add_f64 v[44:45], v[50:51], v[70:71]
	s_delay_alu instid0(VALU_DEP_3) | instskip(SKIP_1) | instid1(VALU_DEP_3)
	v_add_f64 v[50:51], v[80:81], v[68:69]
	v_add_f64 v[80:81], v[70:71], -v[72:73]
	v_add_f64 v[70:71], v[44:45], v[72:73]
	v_add_f64 v[44:45], v[68:69], -v[74:75]
	v_fma_f64 v[68:69], v[124:125], s[0:1], v[106:107]
	v_add_f64 v[72:73], v[50:51], v[74:75]
	v_fma_f64 v[50:51], v[124:125], s[8:9], v[106:107]
	v_fma_f64 v[74:75], v[128:129], s[0:1], v[120:121]
	v_add_f64 v[4:5], v[4:5], v[44:45]
	v_add_f64 v[6:7], v[6:7], v[80:81]
	v_add_f64 v[128:129], v[54:55], -v[64:65]
	v_add_f64 v[106:107], v[58:59], -v[56:57]
	v_fma_f64 v[44:45], v[122:123], s[12:13], v[50:51]
	v_fma_f64 v[50:51], v[122:123], s[14:15], v[68:69]
	;; [unrolled: 1-line block ×4, first 2 shown]
	s_delay_alu instid0(VALU_DEP_4) | instskip(NEXT) | instid1(VALU_DEP_4)
	v_fma_f64 v[80:81], v[6:7], s[16:17], v[44:45]
	v_fma_f64 v[120:121], v[6:7], s[16:17], v[50:51]
	s_delay_alu instid0(VALU_DEP_4) | instskip(NEXT) | instid1(VALU_DEP_4)
	v_fma_f64 v[82:83], v[4:5], s[16:17], v[68:69]
	v_fma_f64 v[122:123], v[4:5], s[16:17], v[74:75]
	v_and_b32_e32 v4, 0xffff, v88
	s_delay_alu instid0(VALU_DEP_1) | instskip(NEXT) | instid1(VALU_DEP_1)
	v_mul_u32_u24_e32 v4, 0x41, v4
	v_add_nc_u32_e32 v4, v4, v89
	v_add_f64 v[88:89], v[52:53], -v[66:67]
	s_delay_alu instid0(VALU_DEP_2)
	v_lshl_add_u32 v109, v4, 4, v134
	ds_load_b128 v[4:7], v160 offset:2496
	ds_load_b128 v[124:127], v160 offset:1248
	;; [unrolled: 1-line block ×3, first 2 shown]
	s_waitcnt lgkmcnt(0)
	s_waitcnt_vscnt null, 0x0
	s_barrier
	buffer_gl0_inv
	ds_store_b128 v109, v[8:11]
	v_add_f64 v[8:9], v[54:55], -v[62:63]
	v_add_f64 v[10:11], v[64:65], -v[60:61]
	ds_store_b128 v109, v[98:101] offset:208
	ds_store_b128 v109, v[12:15] offset:416
	;; [unrolled: 1-line block ×3, first 2 shown]
	v_and_b32_e32 v12, 0xffff, v84
	scratch_store_b32 off, v109, off offset:460 ; 4-byte Folded Spill
	ds_store_b128 v109, v[102:105] offset:832
	v_add_co_ci_u32_e64 v109, null, 0, 0, s19
	v_mul_u32_u24_e32 v12, 0x41, v12
	s_delay_alu instid0(VALU_DEP_1) | instskip(NEXT) | instid1(VALU_DEP_1)
	v_add_nc_u32_e32 v12, v12, v85
	v_lshl_add_u32 v12, v12, 4, v134
	ds_store_b128 v12, v[70:73]
	ds_store_b128 v12, v[94:97] offset:208
	ds_store_b128 v12, v[80:83] offset:416
	;; [unrolled: 1-line block ×3, first 2 shown]
	scratch_store_b32 off, v12, off offset:604 ; 4-byte Folded Spill
	ds_store_b128 v12, v[113:116] offset:832
	v_and_b32_e32 v12, 0xffff, v86
	v_add_co_ci_u32_e64 v113, null, 0, 0, s18
	s_delay_alu instid0(VALU_DEP_2) | instskip(NEXT) | instid1(VALU_DEP_1)
	v_mul_u32_u24_e32 v12, 0x41, v12
	v_add_nc_u32_e32 v12, v12, v87
	v_add_f64 v[44:45], v[8:9], v[10:11]
	v_add_f64 v[8:9], v[52:53], -v[58:59]
	v_add_f64 v[10:11], v[66:67], -v[56:57]
	s_delay_alu instid0(VALU_DEP_4) | instskip(NEXT) | instid1(VALU_DEP_2)
	v_lshl_add_u32 v12, v12, 4, v134
	v_add_f64 v[50:51], v[8:9], v[10:11]
	v_add_f64 v[8:9], v[62:63], v[60:61]
	s_delay_alu instid0(VALU_DEP_1) | instskip(SKIP_1) | instid1(VALU_DEP_1)
	v_fma_f64 v[68:69], v[8:9], -0.5, v[124:125]
	v_add_f64 v[8:9], v[58:59], v[56:57]
	v_fma_f64 v[74:75], v[8:9], -0.5, v[126:127]
	s_delay_alu instid0(VALU_DEP_3) | instskip(SKIP_1) | instid1(VALU_DEP_3)
	v_fma_f64 v[8:9], v[88:89], s[0:1], v[68:69]
	v_fma_f64 v[68:69], v[88:89], s[8:9], v[68:69]
	;; [unrolled: 1-line block ×4, first 2 shown]
	s_delay_alu instid0(VALU_DEP_3) | instskip(SKIP_1) | instid1(VALU_DEP_4)
	v_fma_f64 v[68:69], v[106:107], s[14:15], v[68:69]
	v_fma_f64 v[8:9], v[106:107], s[12:13], v[8:9]
	;; [unrolled: 1-line block ×3, first 2 shown]
	s_delay_alu instid0(VALU_DEP_4) | instskip(NEXT) | instid1(VALU_DEP_4)
	v_fma_f64 v[74:75], v[144:145], s[12:13], v[74:75]
	v_fma_f64 v[140:141], v[44:45], s[16:17], v[68:69]
	s_delay_alu instid0(VALU_DEP_4)
	v_fma_f64 v[8:9], v[44:45], s[16:17], v[8:9]
	v_add_f64 v[44:45], v[54:55], v[64:65]
	v_fma_f64 v[10:11], v[50:51], s[16:17], v[10:11]
	v_fma_f64 v[142:143], v[50:51], s[16:17], v[74:75]
	v_add_f64 v[50:51], v[52:53], v[66:67]
	v_add_f64 v[74:75], v[126:127], v[52:53]
	v_fma_f64 v[44:45], v[44:45], -0.5, v[124:125]
	s_delay_alu instid0(VALU_DEP_3) | instskip(SKIP_4) | instid1(VALU_DEP_4)
	v_fma_f64 v[68:69], v[50:51], -0.5, v[126:127]
	v_add_f64 v[50:51], v[124:125], v[54:55]
	v_add_f64 v[54:55], v[62:63], -v[54:55]
	v_add_f64 v[124:125], v[22:23], -v[40:41]
	v_add_f64 v[126:127], v[24:25], -v[30:31]
	v_add_f64 v[50:51], v[50:51], v[62:63]
	v_add_f64 v[62:63], v[74:75], v[58:59]
	v_add_f64 v[58:59], v[58:59], -v[52:53]
	s_delay_alu instid0(VALU_DEP_3) | instskip(NEXT) | instid1(VALU_DEP_3)
	v_add_f64 v[50:51], v[50:51], v[60:61]
	v_add_f64 v[52:53], v[62:63], v[56:57]
	v_add_f64 v[60:61], v[60:61], -v[64:65]
	v_add_f64 v[56:57], v[56:57], -v[66:67]
	v_fma_f64 v[62:63], v[106:107], s[8:9], v[44:45]
	v_fma_f64 v[44:45], v[106:107], s[0:1], v[44:45]
	v_add_f64 v[106:107], v[26:27], -v[28:29]
	v_add_f64 v[50:51], v[50:51], v[64:65]
	v_add_f64 v[52:53], v[52:53], v[66:67]
	v_fma_f64 v[66:67], v[144:145], s[8:9], v[68:69]
	v_fma_f64 v[64:65], v[144:145], s[0:1], v[68:69]
	v_add_f64 v[60:61], v[54:55], v[60:61]
	v_add_f64 v[68:69], v[58:59], v[56:57]
	v_fma_f64 v[54:55], v[88:89], s[12:13], v[62:63]
	v_fma_f64 v[44:45], v[88:89], s[14:15], v[44:45]
	v_add_f64 v[88:89], v[20:21], -v[42:43]
	v_add_f64 v[144:145], v[18:19], -v[46:47]
	v_fma_f64 v[62:63], v[128:129], s[12:13], v[66:67]
	v_fma_f64 v[56:57], v[128:129], s[14:15], v[64:65]
	v_add_f64 v[64:65], v[42:43], -v[28:29]
	v_add_f64 v[128:129], v[136:137], v[22:23]
	v_fma_f64 v[54:55], v[60:61], s[16:17], v[54:55]
	v_fma_f64 v[58:59], v[60:61], s[16:17], v[44:45]
	v_add_f64 v[44:45], v[22:23], -v[24:25]
	v_fma_f64 v[60:61], v[68:69], s[16:17], v[62:63]
	v_add_f64 v[62:63], v[40:41], -v[30:31]
	v_fma_f64 v[56:57], v[68:69], s[16:17], v[56:57]
	ds_store_b128 v12, v[50:53]
	ds_store_b128 v12, v[8:11] offset:208
	ds_store_b128 v12, v[54:57] offset:416
	;; [unrolled: 1-line block ×3, first 2 shown]
	v_add_f64 v[44:45], v[44:45], v[62:63]
	v_add_f64 v[62:63], v[20:21], -v[26:27]
	v_and_b32_e32 v8, 0xffff, v90
	scratch_store_b32 off, v12, off offset:600 ; 4-byte Folded Spill
	ds_store_b128 v12, v[140:143] offset:832
	v_mul_u32_u24_e32 v8, 0x41, v8
	s_delay_alu instid0(VALU_DEP_1) | instskip(NEXT) | instid1(VALU_DEP_1)
	v_add_nc_u32_e32 v8, v8, v91
	v_lshl_add_u32 v8, v8, 4, v134
	v_add_f64 v[68:69], v[62:63], v[64:65]
	v_add_f64 v[62:63], v[24:25], v[30:31]
	s_delay_alu instid0(VALU_DEP_1) | instskip(SKIP_1) | instid1(VALU_DEP_1)
	v_fma_f64 v[66:67], v[62:63], -0.5, v[136:137]
	v_add_f64 v[62:63], v[26:27], v[28:29]
	v_fma_f64 v[74:75], v[62:63], -0.5, v[138:139]
	s_delay_alu instid0(VALU_DEP_3) | instskip(SKIP_1) | instid1(VALU_DEP_3)
	v_fma_f64 v[62:63], v[88:89], s[0:1], v[66:67]
	v_fma_f64 v[66:67], v[88:89], s[8:9], v[66:67]
	;; [unrolled: 1-line block ×3, first 2 shown]
	s_delay_alu instid0(VALU_DEP_3) | instskip(SKIP_1) | instid1(VALU_DEP_4)
	v_fma_f64 v[62:63], v[106:107], s[12:13], v[62:63]
	v_fma_f64 v[74:75], v[124:125], s[0:1], v[74:75]
	;; [unrolled: 1-line block ×3, first 2 shown]
	s_delay_alu instid0(VALU_DEP_4) | instskip(NEXT) | instid1(VALU_DEP_4)
	v_fma_f64 v[64:65], v[126:127], s[14:15], v[64:65]
	v_fma_f64 v[62:63], v[44:45], s[16:17], v[62:63]
	s_delay_alu instid0(VALU_DEP_4) | instskip(NEXT) | instid1(VALU_DEP_4)
	v_fma_f64 v[74:75], v[126:127], s[12:13], v[74:75]
	v_fma_f64 v[66:67], v[44:45], s[16:17], v[66:67]
	v_add_f64 v[44:45], v[22:23], v[40:41]
	v_fma_f64 v[64:65], v[68:69], s[16:17], v[64:65]
	s_delay_alu instid0(VALU_DEP_4) | instskip(SKIP_1) | instid1(VALU_DEP_4)
	v_fma_f64 v[68:69], v[68:69], s[16:17], v[74:75]
	v_add_f64 v[74:75], v[20:21], v[42:43]
	v_fma_f64 v[44:45], v[44:45], -0.5, v[136:137]
	v_add_f64 v[136:137], v[138:139], v[20:21]
	s_delay_alu instid0(VALU_DEP_3) | instskip(SKIP_2) | instid1(VALU_DEP_4)
	v_fma_f64 v[74:75], v[74:75], -0.5, v[138:139]
	v_add_f64 v[138:139], v[24:25], -v[22:23]
	v_add_f64 v[22:23], v[128:129], v[24:25]
	v_add_f64 v[24:25], v[136:137], v[26:27]
	v_add_f64 v[26:27], v[26:27], -v[20:21]
	v_add_f64 v[128:129], v[34:35], -v[36:37]
	;; [unrolled: 1-line block ×3, first 2 shown]
	v_add_f64 v[20:21], v[22:23], v[30:31]
	v_add_f64 v[22:23], v[24:25], v[28:29]
	v_add_f64 v[24:25], v[30:31], -v[40:41]
	v_add_f64 v[28:29], v[28:29], -v[42:43]
	v_fma_f64 v[30:31], v[106:107], s[8:9], v[44:45]
	v_add_f64 v[20:21], v[20:21], v[40:41]
	v_add_f64 v[22:23], v[22:23], v[42:43]
	v_fma_f64 v[40:41], v[106:107], s[0:1], v[44:45]
	v_fma_f64 v[42:43], v[126:127], s[0:1], v[74:75]
	;; [unrolled: 1-line block ×3, first 2 shown]
	v_add_f64 v[106:107], v[26:27], v[28:29]
	v_add_f64 v[74:75], v[138:139], v[24:25]
	v_fma_f64 v[24:25], v[88:89], s[12:13], v[30:31]
	v_add_f64 v[138:139], v[32:33], -v[38:39]
	v_fma_f64 v[28:29], v[88:89], s[14:15], v[40:41]
	v_fma_f64 v[26:27], v[124:125], s[14:15], v[42:43]
	v_add_f64 v[40:41], v[32:33], -v[18:19]
	v_add_f64 v[42:43], v[38:39], -v[46:47]
	v_fma_f64 v[30:31], v[124:125], s[12:13], v[44:45]
	v_fma_f64 v[24:25], v[74:75], s[16:17], v[24:25]
	;; [unrolled: 1-line block ×4, first 2 shown]
	v_add_f64 v[44:45], v[40:41], v[42:43]
	v_add_f64 v[40:41], v[34:35], -v[16:17]
	v_add_f64 v[42:43], v[36:37], -v[48:49]
	v_fma_f64 v[30:31], v[106:107], s[16:17], v[30:31]
	ds_store_b128 v8, v[20:23]
	ds_store_b128 v8, v[62:65] offset:208
	ds_store_b128 v8, v[24:27] offset:416
	;; [unrolled: 1-line block ×3, first 2 shown]
	scratch_store_b32 off, v8, off offset:596 ; 4-byte Folded Spill
	v_add_f64 v[74:75], v[40:41], v[42:43]
	v_add_f64 v[40:41], v[18:19], v[46:47]
	ds_store_b128 v8, v[66:69] offset:832
	v_and_b32_e32 v8, 0xffff, v92
	s_delay_alu instid0(VALU_DEP_1) | instskip(NEXT) | instid1(VALU_DEP_1)
	v_mul_u32_u24_e32 v8, 0x41, v8
	v_add_nc_u32_e32 v8, v8, v93
	s_delay_alu instid0(VALU_DEP_1) | instskip(SKIP_2) | instid1(VALU_DEP_1)
	v_lshl_add_u32 v8, v8, 4, v134
	v_fma_f64 v[88:89], v[40:41], -0.5, v[4:5]
	v_add_f64 v[40:41], v[16:17], v[48:49]
	v_fma_f64 v[106:107], v[40:41], -0.5, v[6:7]
	s_delay_alu instid0(VALU_DEP_3) | instskip(SKIP_1) | instid1(VALU_DEP_3)
	v_fma_f64 v[40:41], v[128:129], s[8:9], v[88:89]
	v_fma_f64 v[88:89], v[128:129], s[0:1], v[88:89]
	;; [unrolled: 1-line block ×4, first 2 shown]
	s_delay_alu instid0(VALU_DEP_4) | instskip(NEXT) | instid1(VALU_DEP_4)
	v_fma_f64 v[40:41], v[136:137], s[12:13], v[40:41]
	v_fma_f64 v[88:89], v[136:137], s[14:15], v[88:89]
	s_delay_alu instid0(VALU_DEP_4) | instskip(NEXT) | instid1(VALU_DEP_4)
	v_fma_f64 v[42:43], v[144:145], s[14:15], v[42:43]
	v_fma_f64 v[106:107], v[144:145], s[12:13], v[106:107]
	;; [unrolled: 3-line block ×3, first 2 shown]
	v_add_f64 v[44:45], v[32:33], v[38:39]
	v_add_f64 v[88:89], v[18:19], -v[32:33]
	v_fma_f64 v[42:43], v[74:75], s[16:17], v[42:43]
	v_fma_f64 v[126:127], v[74:75], s[16:17], v[106:107]
	v_add_f64 v[74:75], v[34:35], v[36:37]
	v_fma_f64 v[44:45], v[44:45], -0.5, v[4:5]
	v_add_f64 v[4:5], v[4:5], v[18:19]
	s_delay_alu instid0(VALU_DEP_3) | instskip(SKIP_1) | instid1(VALU_DEP_3)
	v_fma_f64 v[74:75], v[74:75], -0.5, v[6:7]
	v_add_f64 v[6:7], v[6:7], v[16:17]
	v_add_f64 v[4:5], v[4:5], v[32:33]
	v_add_f64 v[32:33], v[16:17], -v[34:35]
	s_delay_alu instid0(VALU_DEP_3) | instskip(SKIP_1) | instid1(VALU_DEP_4)
	v_add_f64 v[6:7], v[6:7], v[34:35]
	v_add_f64 v[34:35], v[46:47], -v[38:39]
	v_add_f64 v[4:5], v[4:5], v[38:39]
	v_fma_f64 v[38:39], v[144:145], s[8:9], v[74:75]
	s_delay_alu instid0(VALU_DEP_4) | instskip(NEXT) | instid1(VALU_DEP_3)
	v_add_f64 v[6:7], v[6:7], v[36:37]
	v_add_f64 v[16:17], v[4:5], v[46:47]
	v_add_f64 v[4:5], v[48:49], -v[36:37]
	v_fma_f64 v[36:37], v[136:137], s[8:9], v[44:45]
	v_add_f64 v[46:47], v[88:89], v[34:35]
	v_fma_f64 v[34:35], v[138:139], s[14:15], v[38:39]
	v_add_f64 v[18:19], v[6:7], v[48:49]
	v_fma_f64 v[6:7], v[136:137], s[0:1], v[44:45]
	v_fma_f64 v[44:45], v[144:145], s[0:1], v[74:75]
	v_add_f64 v[48:49], v[32:33], v[4:5]
	v_cmp_gt_u16_e64 s0, 13, v111
	v_add_co_ci_u32_e64 v111, null, 0, 0, s20
	v_fma_f64 v[4:5], v[128:129], s[12:13], v[6:7]
	v_fma_f64 v[6:7], v[128:129], s[14:15], v[36:37]
	;; [unrolled: 1-line block ×4, first 2 shown]
                                        ; implicit-def: $vgpr44_vgpr45
	s_delay_alu instid0(VALU_DEP_4) | instskip(NEXT) | instid1(VALU_DEP_4)
	v_fma_f64 v[32:33], v[46:47], s[16:17], v[4:5]
	v_fma_f64 v[4:5], v[46:47], s[16:17], v[6:7]
	s_delay_alu instid0(VALU_DEP_4)
	v_fma_f64 v[6:7], v[48:49], s[16:17], v[36:37]
	ds_store_b128 v8, v[16:19]
	ds_store_b128 v8, v[32:35] offset:208
	ds_store_b128 v8, v[40:43] offset:416
	;; [unrolled: 1-line block ×3, first 2 shown]
	scratch_store_b32 off, v8, off offset:592 ; 4-byte Folded Spill
	ds_store_b128 v8, v[4:7] offset:832
	s_waitcnt lgkmcnt(0)
	s_waitcnt_vscnt null, 0x0
	s_barrier
	buffer_gl0_inv
	ds_load_b128 v[36:39], v160
	ds_load_b128 v[28:31], v160 offset:624
	ds_load_b128 v[104:107], v160 offset:5200
	;; [unrolled: 1-line block ×23, first 2 shown]
	s_and_saveexec_b32 s1, s0
	s_cbranch_execz .LBB0_9
; %bb.8:
	ds_load_b128 v[4:7], v160 offset:4992
	ds_load_b128 v[192:195], v160 offset:10192
	;; [unrolled: 1-line block ×3, first 2 shown]
.LBB0_9:
	s_or_b32 exec_lo, exec_lo, s1
	scratch_load_b64 v[134:135], off, off   ; 8-byte Folded Reload
	s_mov_b32 s13, 0xbfebb67a
	s_waitcnt vmcnt(0)
	v_lshlrev_b64 v[114:115], 5, v[134:135]
	s_delay_alu instid0(VALU_DEP_1) | instskip(NEXT) | instid1(VALU_DEP_1)
	v_add_co_u32 v120, s1, s2, v114
	v_add_co_ci_u32_e64 v121, s1, s3, v115, s1
	v_cmp_gt_u16_e64 s1, 26, v134
	global_load_b128 v[122:125], v[120:121], off offset:832
	s_waitcnt vmcnt(0) lgkmcnt(21)
	v_mul_f64 v[114:115], v[106:107], v[124:125]
	scratch_store_b128 off, v[122:125], off offset:608 ; 16-byte Folded Spill
	v_fma_f64 v[114:115], v[104:105], v[122:123], -v[114:115]
	v_mul_f64 v[104:105], v[104:105], v[124:125]
	s_delay_alu instid0(VALU_DEP_1)
	v_fma_f64 v[104:105], v[106:107], v[122:123], v[104:105]
	global_load_b128 v[122:125], v[120:121], off offset:848
	s_waitcnt vmcnt(0) lgkmcnt(19)
	v_mul_f64 v[106:107], v[102:103], v[124:125]
	scratch_store_b128 off, v[122:125], off offset:656 ; 16-byte Folded Spill
	v_fma_f64 v[106:107], v[100:101], v[122:123], -v[106:107]
	v_mul_f64 v[100:101], v[100:101], v[124:125]
	s_delay_alu instid0(VALU_DEP_1)
	v_fma_f64 v[116:117], v[102:103], v[122:123], v[100:101]
	;; [unrolled: 8-line block ×3, first 2 shown]
	global_load_b128 v[120:123], v[120:121], off offset:1264
	s_waitcnt vmcnt(0) lgkmcnt(13)
	v_mul_f64 v[98:99], v[94:95], v[122:123]
	scratch_store_b128 off, v[120:123], off offset:640 ; 16-byte Folded Spill
	v_fma_f64 v[98:99], v[92:93], v[120:121], -v[98:99]
	v_mul_f64 v[92:93], v[92:93], v[122:123]
	s_delay_alu instid0(VALU_DEP_1) | instskip(SKIP_1) | instid1(VALU_DEP_1)
	v_fma_f64 v[102:103], v[94:95], v[120:121], v[92:93]
	v_add_co_u32 v92, s8, 0xffffffe6, v134
	v_add_co_ci_u32_e64 v93, null, 0, -1, s8
	s_mov_b32 s8, 0xe8584caa
	s_delay_alu instid0(VALU_DEP_2) | instskip(SKIP_1) | instid1(VALU_DEP_2)
	v_cndmask_b32_e64 v92, v92, v130, s1
	s_mov_b32 s9, 0x3febb67a
	v_cndmask_b32_e64 v93, v93, v131, s1
	s_mov_b32 s12, s8
	s_delay_alu instid0(VALU_DEP_1) | instskip(NEXT) | instid1(VALU_DEP_1)
	v_lshlrev_b64 v[93:94], 5, v[92:93]
	v_add_co_u32 v120, s1, s2, v93
	s_delay_alu instid0(VALU_DEP_1)
	v_add_co_ci_u32_e64 v121, s1, s3, v94, s1
	global_load_b128 v[122:125], v[120:121], off offset:832
	s_waitcnt vmcnt(0)
	v_mul_f64 v[93:94], v[90:91], v[124:125]
	scratch_store_b128 off, v[122:125], off offset:672 ; 16-byte Folded Spill
	v_fma_f64 v[93:94], v[88:89], v[122:123], -v[93:94]
	v_mul_f64 v[88:89], v[88:89], v[124:125]
	s_delay_alu instid0(VALU_DEP_1)
	v_fma_f64 v[88:89], v[90:91], v[122:123], v[88:89]
	global_load_b128 v[120:123], v[120:121], off offset:848
	s_waitcnt vmcnt(0)
	v_mul_f64 v[90:91], v[86:87], v[122:123]
	scratch_store_b128 off, v[120:123], off offset:688 ; 16-byte Folded Spill
	v_fma_f64 v[90:91], v[84:85], v[120:121], -v[90:91]
	v_mul_f64 v[84:85], v[84:85], v[122:123]
	s_delay_alu instid0(VALU_DEP_1) | instskip(SKIP_1) | instid1(VALU_DEP_1)
	v_fma_f64 v[84:85], v[86:87], v[120:121], v[84:85]
	v_mul_lo_u16 v86, 0xfd, v119
	v_lshrrev_b16 v131, 14, v86
	s_delay_alu instid0(VALU_DEP_1) | instskip(NEXT) | instid1(VALU_DEP_1)
	v_mul_lo_u16 v86, 0x41, v131
	v_sub_nc_u16 v86, v108, v86
	s_delay_alu instid0(VALU_DEP_1) | instskip(NEXT) | instid1(VALU_DEP_1)
	v_and_b32_e32 v153, 0xff, v86
	v_lshlrev_b32_e32 v95, 5, v153
	global_load_b128 v[119:122], v95, s[2:3] offset:832
	s_waitcnt vmcnt(0)
	v_mul_f64 v[86:87], v[82:83], v[121:122]
	scratch_store_b128 off, v[119:122], off offset:924 ; 16-byte Folded Spill
	v_fma_f64 v[86:87], v[80:81], v[119:120], -v[86:87]
	v_mul_f64 v[80:81], v[80:81], v[121:122]
	s_delay_alu instid0(VALU_DEP_1)
	v_fma_f64 v[80:81], v[82:83], v[119:120], v[80:81]
	global_load_b128 v[119:122], v95, s[2:3] offset:848
	s_waitcnt vmcnt(0) lgkmcnt(12)
	v_mul_f64 v[82:83], v[78:79], v[121:122]
	scratch_store_b128 off, v[119:122], off offset:940 ; 16-byte Folded Spill
	v_fma_f64 v[82:83], v[76:77], v[119:120], -v[82:83]
	v_mul_f64 v[76:77], v[76:77], v[121:122]
	s_delay_alu instid0(VALU_DEP_1) | instskip(SKIP_1) | instid1(VALU_DEP_1)
	v_fma_f64 v[76:77], v[78:79], v[119:120], v[76:77]
	v_mul_lo_u16 v78, 0xfd, v118
	v_lshrrev_b16 v78, 14, v78
	s_delay_alu instid0(VALU_DEP_1) | instskip(NEXT) | instid1(VALU_DEP_1)
	v_mul_lo_u16 v78, 0x41, v78
	v_sub_nc_u16 v78, v110, v78
	s_delay_alu instid0(VALU_DEP_1) | instskip(NEXT) | instid1(VALU_DEP_1)
	v_and_b32_e32 v154, 0xff, v78
	v_lshlrev_b32_e32 v95, 5, v154
	s_clause 0x1
	global_load_b128 v[118:121], v95, s[2:3] offset:832
	global_load_b128 v[122:125], v95, s[2:3] offset:848
	s_waitcnt vmcnt(1) lgkmcnt(9)
	v_mul_f64 v[78:79], v[74:75], v[120:121]
	scratch_store_b128 off, v[118:121], off offset:956 ; 16-byte Folded Spill
	s_waitcnt vmcnt(0)
	scratch_store_b128 off, v[122:125], off offset:972 ; 16-byte Folded Spill
	v_fma_f64 v[78:79], v[72:73], v[118:119], -v[78:79]
	v_mul_f64 v[72:73], v[72:73], v[120:121]
	s_delay_alu instid0(VALU_DEP_1) | instskip(SKIP_2) | instid1(VALU_DEP_1)
	v_fma_f64 v[118:119], v[74:75], v[118:119], v[72:73]
	s_waitcnt lgkmcnt(7)
	v_mul_f64 v[72:73], v[70:71], v[124:125]
	v_fma_f64 v[120:121], v[68:69], v[122:123], -v[72:73]
	v_mul_f64 v[68:69], v[68:69], v[124:125]
	s_delay_alu instid0(VALU_DEP_1) | instskip(SKIP_1) | instid1(VALU_DEP_1)
	v_fma_f64 v[122:123], v[70:71], v[122:123], v[68:69]
	v_add_nc_u16 v68, v134, 0xc3
	v_and_b32_e32 v69, 0xff, v68
	s_delay_alu instid0(VALU_DEP_1) | instskip(NEXT) | instid1(VALU_DEP_1)
	v_mul_lo_u16 v69, 0xfd, v69
	v_lshrrev_b16 v69, 14, v69
	s_delay_alu instid0(VALU_DEP_1) | instskip(NEXT) | instid1(VALU_DEP_1)
	v_mul_lo_u16 v69, 0x41, v69
	v_sub_nc_u16 v68, v68, v69
	s_delay_alu instid0(VALU_DEP_1) | instskip(NEXT) | instid1(VALU_DEP_1)
	v_and_b32_e32 v155, 0xff, v68
	v_lshlrev_b32_e32 v70, 5, v155
	global_load_b128 v[71:74], v70, s[2:3] offset:832
	s_waitcnt vmcnt(0)
	v_mul_f64 v[68:69], v[66:67], v[73:74]
	s_delay_alu instid0(VALU_DEP_1) | instskip(SKIP_1) | instid1(VALU_DEP_1)
	v_fma_f64 v[124:125], v[64:65], v[71:72], -v[68:69]
	v_mul_f64 v[64:65], v[64:65], v[73:74]
	v_fma_f64 v[126:127], v[66:67], v[71:72], v[64:65]
	global_load_b128 v[66:69], v70, s[2:3] offset:848
	scratch_store_b128 off, v[71:74], off offset:988 ; 16-byte Folded Spill
	v_add_f64 v[70:71], v[80:81], -v[76:77]
	v_add_f64 v[74:75], v[86:87], -v[82:83]
	s_waitcnt vmcnt(0)
	scratch_store_b128 off, v[66:69], off offset:1004 ; 16-byte Folded Spill
	s_waitcnt lgkmcnt(6)
	v_mul_f64 v[64:65], v[62:63], v[68:69]
	s_delay_alu instid0(VALU_DEP_1) | instskip(SKIP_1) | instid1(VALU_DEP_1)
	v_fma_f64 v[128:129], v[60:61], v[66:67], -v[64:65]
	v_mul_f64 v[60:61], v[60:61], v[68:69]
	v_fma_f64 v[135:136], v[62:63], v[66:67], v[60:61]
	v_add_co_u32 v60, null, 0xea, v134
	s_delay_alu instid0(VALU_DEP_1) | instskip(NEXT) | instid1(VALU_DEP_1)
	v_and_b32_e32 v61, 0xffff, v60
	v_mul_u32_u24_e32 v61, 0xfc1, v61
	s_delay_alu instid0(VALU_DEP_1) | instskip(NEXT) | instid1(VALU_DEP_1)
	v_lshrrev_b32_e32 v156, 18, v61
	v_mul_lo_u16 v61, 0x41, v156
	s_delay_alu instid0(VALU_DEP_1) | instskip(NEXT) | instid1(VALU_DEP_1)
	v_sub_nc_u16 v157, v60, v61
	v_lshlrev_b16 v60, 5, v157
	s_delay_alu instid0(VALU_DEP_1) | instskip(NEXT) | instid1(VALU_DEP_1)
	v_and_b32_e32 v60, 0xffff, v60
	v_add_co_u32 v60, s1, s2, v60
	s_delay_alu instid0(VALU_DEP_1) | instskip(SKIP_3) | instid1(VALU_DEP_1)
	v_add_co_ci_u32_e64 v61, null, s3, 0, s1
	global_load_b128 v[64:67], v[60:61], off offset:832
	s_waitcnt vmcnt(0) lgkmcnt(3)
	v_mul_f64 v[62:63], v[58:59], v[66:67]
	v_fma_f64 v[137:138], v[56:57], v[64:65], -v[62:63]
	v_mul_f64 v[56:57], v[56:57], v[66:67]
	s_delay_alu instid0(VALU_DEP_1)
	v_fma_f64 v[139:140], v[58:59], v[64:65], v[56:57]
	global_load_b128 v[58:61], v[60:61], off offset:848
	scratch_store_b128 off, v[64:67], off offset:1020 ; 16-byte Folded Spill
	v_add_f64 v[66:67], v[93:94], -v[90:91]
	s_waitcnt vmcnt(0)
	scratch_store_b128 off, v[58:61], off offset:1036 ; 16-byte Folded Spill
	s_waitcnt lgkmcnt(1)
	v_mul_f64 v[56:57], v[54:55], v[60:61]
	s_delay_alu instid0(VALU_DEP_1) | instskip(SKIP_2) | instid1(VALU_DEP_2)
	v_fma_f64 v[141:142], v[52:53], v[58:59], -v[56:57]
	v_mul_f64 v[52:53], v[52:53], v[60:61]
	v_add_f64 v[60:61], v[96:97], -v[102:103]
	v_fma_f64 v[143:144], v[54:55], v[58:59], v[52:53]
	v_add_nc_u32_e32 v52, 0x111, v134
	s_delay_alu instid0(VALU_DEP_1) | instskip(NEXT) | instid1(VALU_DEP_1)
	v_and_b32_e32 v53, 0xffff, v52
	v_mul_u32_u24_e32 v53, 0xfc1, v53
	s_delay_alu instid0(VALU_DEP_1) | instskip(NEXT) | instid1(VALU_DEP_1)
	v_lshrrev_b32_e32 v53, 18, v53
	v_mul_lo_u16 v53, 0x41, v53
	s_delay_alu instid0(VALU_DEP_1) | instskip(NEXT) | instid1(VALU_DEP_1)
	v_sub_nc_u16 v158, v52, v53
	v_lshlrev_b16 v52, 5, v158
	s_delay_alu instid0(VALU_DEP_1) | instskip(NEXT) | instid1(VALU_DEP_1)
	v_and_b32_e32 v52, 0xffff, v52
	v_add_co_u32 v52, s1, s2, v52
	s_delay_alu instid0(VALU_DEP_1) | instskip(SKIP_3) | instid1(VALU_DEP_1)
	v_add_co_ci_u32_e64 v53, null, s3, 0, s1
	global_load_b128 v[56:59], v[52:53], off offset:832
	s_waitcnt vmcnt(0)
	v_mul_f64 v[54:55], v[50:51], v[58:59]
	v_fma_f64 v[145:146], v[48:49], v[56:57], -v[54:55]
	v_mul_f64 v[48:49], v[48:49], v[58:59]
	s_delay_alu instid0(VALU_DEP_1)
	v_fma_f64 v[147:148], v[50:51], v[56:57], v[48:49]
	global_load_b128 v[50:53], v[52:53], off offset:848
	scratch_store_b128 off, v[56:59], off offset:1052 ; 16-byte Folded Spill
	s_waitcnt vmcnt(0)
	scratch_store_b128 off, v[50:53], off offset:1068 ; 16-byte Folded Spill
	s_waitcnt lgkmcnt(0)
	v_mul_f64 v[48:49], v[42:43], v[52:53]
	s_delay_alu instid0(VALU_DEP_1) | instskip(SKIP_2) | instid1(VALU_DEP_2)
	v_fma_f64 v[149:150], v[40:41], v[50:51], -v[48:49]
	v_mul_f64 v[40:41], v[40:41], v[52:53]
	v_add_f64 v[52:53], v[114:115], -v[106:107]
	v_fma_f64 v[151:152], v[42:43], v[50:51], v[40:41]
	v_add_nc_u32_e32 v40, 0x138, v134
	s_delay_alu instid0(VALU_DEP_1) | instskip(NEXT) | instid1(VALU_DEP_1)
	v_and_b32_e32 v41, 0xffff, v40
	v_mul_u32_u24_e32 v41, 0xfc1, v41
	s_delay_alu instid0(VALU_DEP_1) | instskip(NEXT) | instid1(VALU_DEP_1)
	v_lshrrev_b32_e32 v41, 18, v41
	v_mul_lo_u16 v41, 0x41, v41
	s_delay_alu instid0(VALU_DEP_1) | instskip(NEXT) | instid1(VALU_DEP_1)
	v_sub_nc_u16 v159, v40, v41
	v_lshlrev_b16 v40, 5, v159
	s_delay_alu instid0(VALU_DEP_1) | instskip(NEXT) | instid1(VALU_DEP_1)
	v_and_b32_e32 v40, 0xffff, v40
	v_add_co_u32 v42, s1, s2, v40
	s_delay_alu instid0(VALU_DEP_1)
	v_add_co_ci_u32_e64 v43, null, s3, 0, s1
	v_cmp_lt_u16_e64 s1, 25, v134
	global_load_b128 v[48:51], v[42:43], off offset:832
	s_waitcnt vmcnt(0)
	v_mul_f64 v[40:41], v[194:195], v[50:51]
	v_mul_f64 v[0:1], v[192:193], v[50:51]
	scratch_store_b128 off, v[48:51], off offset:1216 ; 16-byte Folded Spill
	v_fma_f64 v[40:41], v[192:193], v[48:49], -v[40:41]
	v_fma_f64 v[2:3], v[194:195], v[48:49], v[0:1]
	global_load_b128 v[48:51], v[42:43], off offset:848
	s_waitcnt vmcnt(0)
	v_mul_f64 v[0:1], v[46:47], v[50:51]
	v_mul_f64 v[42:43], v[44:45], v[50:51]
	scratch_store_b128 off, v[48:51], off offset:1232 ; 16-byte Folded Spill
	s_waitcnt_vscnt null, 0x0
	s_barrier
	buffer_gl0_inv
	v_fma_f64 v[0:1], v[44:45], v[48:49], -v[0:1]
	v_add_f64 v[44:45], v[114:115], v[106:107]
	v_fma_f64 v[42:43], v[46:47], v[48:49], v[42:43]
	v_add_f64 v[48:49], v[104:105], -v[116:117]
	s_delay_alu instid0(VALU_DEP_3) | instskip(SKIP_2) | instid1(VALU_DEP_2)
	v_fma_f64 v[46:47], v[44:45], -0.5, v[36:37]
	v_add_f64 v[44:45], v[104:105], v[116:117]
	v_add_f64 v[36:37], v[36:37], v[114:115]
	v_fma_f64 v[50:51], v[44:45], -0.5, v[38:39]
	s_delay_alu instid0(VALU_DEP_4)
	v_fma_f64 v[44:45], v[48:49], s[8:9], v[46:47]
	v_fma_f64 v[48:49], v[48:49], s[12:13], v[46:47]
	v_add_f64 v[38:39], v[38:39], v[104:105]
	v_add_f64 v[36:37], v[36:37], v[106:107]
	v_add_f64 v[105:106], v[145:146], -v[149:150]
	v_fma_f64 v[46:47], v[52:53], s[12:13], v[50:51]
	v_fma_f64 v[50:51], v[52:53], s[8:9], v[50:51]
	v_add_f64 v[52:53], v[100:101], v[98:99]
	v_add_f64 v[38:39], v[38:39], v[116:117]
	s_delay_alu instid0(VALU_DEP_2)
	v_fma_f64 v[58:59], v[52:53], -0.5, v[32:33]
	v_add_f64 v[52:53], v[96:97], v[102:103]
	v_add_f64 v[32:33], v[32:33], v[100:101]
	ds_store_b128 v160, v[36:39]
	v_add_f64 v[38:39], v[88:89], -v[84:85]
	v_fma_f64 v[56:57], v[60:61], s[8:9], v[58:59]
	v_fma_f64 v[62:63], v[52:53], -0.5, v[34:35]
	v_add_f64 v[52:53], v[32:33], v[98:99]
	v_add_f64 v[32:33], v[100:101], -v[98:99]
	v_add_f64 v[34:35], v[34:35], v[96:97]
	v_fma_f64 v[60:61], v[60:61], s[12:13], v[58:59]
	v_add_f64 v[95:96], v[139:140], -v[143:144]
	v_add_f64 v[99:100], v[137:138], -v[141:142]
	v_fma_f64 v[58:59], v[32:33], s[12:13], v[62:63]
	v_fma_f64 v[62:63], v[32:33], s[8:9], v[62:63]
	v_add_f64 v[32:33], v[93:94], v[90:91]
	v_add_f64 v[54:55], v[34:35], v[102:103]
	;; [unrolled: 1-line block ×3, first 2 shown]
	v_add_f64 v[103:104], v[147:148], -v[151:152]
	s_delay_alu instid0(VALU_DEP_4) | instskip(SKIP_1) | instid1(VALU_DEP_4)
	v_fma_f64 v[32:33], v[32:33], -0.5, v[28:29]
	v_add_f64 v[28:29], v[28:29], v[93:94]
	v_fma_f64 v[34:35], v[34:35], -0.5, v[30:31]
	v_add_f64 v[30:31], v[30:31], v[88:89]
	s_delay_alu instid0(VALU_DEP_4)
	v_fma_f64 v[36:37], v[38:39], s[8:9], v[32:33]
	v_fma_f64 v[64:65], v[38:39], s[12:13], v[32:33]
	v_add_f64 v[32:33], v[86:87], v[82:83]
	v_fma_f64 v[38:39], v[66:67], s[12:13], v[34:35]
	v_fma_f64 v[66:67], v[66:67], s[8:9], v[34:35]
	v_add_f64 v[34:35], v[80:81], v[76:77]
	v_add_f64 v[30:31], v[30:31], v[84:85]
	;; [unrolled: 1-line block ×3, first 2 shown]
	v_add_f64 v[90:91], v[124:125], -v[128:129]
	v_fma_f64 v[32:33], v[32:33], -0.5, v[24:25]
	v_add_f64 v[24:25], v[24:25], v[86:87]
	v_add_f64 v[86:87], v[126:127], -v[135:136]
	v_fma_f64 v[34:35], v[34:35], -0.5, v[26:27]
	v_add_f64 v[26:27], v[26:27], v[80:81]
	v_add_f64 v[80:81], v[118:119], -v[122:123]
	v_fma_f64 v[68:69], v[70:71], s[8:9], v[32:33]
	v_fma_f64 v[72:73], v[70:71], s[12:13], v[32:33]
	v_add_f64 v[32:33], v[78:79], v[120:121]
	v_fma_f64 v[70:71], v[74:75], s[12:13], v[34:35]
	v_fma_f64 v[74:75], v[74:75], s[8:9], v[34:35]
	v_add_f64 v[34:35], v[118:119], v[122:123]
	v_add_f64 v[26:27], v[26:27], v[76:77]
	;; [unrolled: 1-line block ×3, first 2 shown]
	v_add_f64 v[82:83], v[78:79], -v[120:121]
	v_fma_f64 v[32:33], v[32:33], -0.5, v[20:21]
	v_add_f64 v[20:21], v[20:21], v[78:79]
	v_fma_f64 v[34:35], v[34:35], -0.5, v[22:23]
	v_add_f64 v[22:23], v[22:23], v[118:119]
	v_add_f64 v[118:119], v[2:3], -v[42:43]
	v_fma_f64 v[76:77], v[80:81], s[8:9], v[32:33]
	v_fma_f64 v[80:81], v[80:81], s[12:13], v[32:33]
	v_add_f64 v[32:33], v[124:125], v[128:129]
	v_fma_f64 v[78:79], v[82:83], s[12:13], v[34:35]
	v_fma_f64 v[82:83], v[82:83], s[8:9], v[34:35]
	v_add_f64 v[34:35], v[126:127], v[135:136]
	v_add_f64 v[20:21], v[20:21], v[120:121]
	v_add_f64 v[22:23], v[22:23], v[122:123]
	v_fma_f64 v[32:33], v[32:33], -0.5, v[16:17]
	v_add_f64 v[16:17], v[16:17], v[124:125]
	v_fma_f64 v[34:35], v[34:35], -0.5, v[18:19]
	v_add_f64 v[18:19], v[18:19], v[126:127]
	s_delay_alu instid0(VALU_DEP_4)
	v_fma_f64 v[84:85], v[86:87], s[8:9], v[32:33]
	v_fma_f64 v[88:89], v[86:87], s[12:13], v[32:33]
	v_add_f64 v[32:33], v[137:138], v[141:142]
	v_fma_f64 v[86:87], v[90:91], s[12:13], v[34:35]
	v_fma_f64 v[90:91], v[90:91], s[8:9], v[34:35]
	v_add_f64 v[34:35], v[139:140], v[143:144]
	v_add_f64 v[18:19], v[18:19], v[135:136]
	v_add_f64 v[16:17], v[16:17], v[128:129]
	v_fma_f64 v[32:33], v[32:33], -0.5, v[12:13]
	v_add_f64 v[12:13], v[12:13], v[137:138]
	v_fma_f64 v[34:35], v[34:35], -0.5, v[14:15]
	v_add_f64 v[14:15], v[14:15], v[139:140]
	s_delay_alu instid0(VALU_DEP_4)
	;; [unrolled: 13-line block ×3, first 2 shown]
	v_fma_f64 v[101:102], v[103:104], s[8:9], v[32:33]
	v_fma_f64 v[114:115], v[103:104], s[12:13], v[32:33]
	v_add_f64 v[32:33], v[40:41], v[0:1]
	v_fma_f64 v[103:104], v[105:106], s[12:13], v[34:35]
	v_fma_f64 v[116:117], v[105:106], s[8:9], v[34:35]
	v_add_f64 v[10:11], v[10:11], v[151:152]
	v_add_f64 v[8:9], v[8:9], v[149:150]
	v_fma_f64 v[34:35], v[32:33], -0.5, v[4:5]
	v_add_f64 v[32:33], v[2:3], v[42:43]
	s_delay_alu instid0(VALU_DEP_2) | instskip(NEXT) | instid1(VALU_DEP_2)
	v_fma_f64 v[120:121], v[118:119], s[12:13], v[34:35]
	v_fma_f64 v[105:106], v[32:33], -0.5, v[6:7]
	v_fma_f64 v[32:33], v[118:119], s[8:9], v[34:35]
	v_add_f64 v[118:119], v[40:41], -v[0:1]
	s_delay_alu instid0(VALU_DEP_1)
	v_fma_f64 v[122:123], v[118:119], s[8:9], v[105:106]
	v_fma_f64 v[34:35], v[118:119], s[12:13], v[105:106]
	scratch_store_b128 off, v[120:123], off offset:20 ; 16-byte Folded Spill
	ds_store_b128 v160, v[44:47] offset:1040
	ds_store_b128 v160, v[48:51] offset:2080
	v_cndmask_b32_e64 v44, 0, 0xc3, s1
	v_lshlrev_b32_e32 v45, 4, v239
	s_delay_alu instid0(VALU_DEP_2) | instskip(NEXT) | instid1(VALU_DEP_1)
	v_add_nc_u32_e32 v44, v92, v44
	v_lshl_add_u32 v44, v44, 4, v45
	ds_store_b128 v44, v[28:31]
	ds_store_b128 v44, v[36:39] offset:1040
	v_and_b32_e32 v28, 0xffff, v131
	scratch_store_b32 off, v44, off offset:904 ; 4-byte Folded Spill
	ds_store_b128 v44, v[64:67] offset:2080
	ds_store_b128 v160, v[52:55] offset:3328
	;; [unrolled: 1-line block ×4, first 2 shown]
	v_mul_u32_u24_e32 v28, 0xc3, v28
	s_delay_alu instid0(VALU_DEP_1) | instskip(NEXT) | instid1(VALU_DEP_1)
	v_add_nc_u32_e32 v28, v28, v153
	v_lshl_add_u32 v28, v28, 4, v45
	ds_store_b128 v28, v[24:27]
	ds_store_b128 v28, v[68:71] offset:1040
	v_lshl_add_u32 v24, v154, 4, v45
	scratch_store_b32 off, v28, off offset:884 ; 4-byte Folded Spill
	ds_store_b128 v28, v[72:75] offset:2080
	ds_store_b128 v24, v[20:23] offset:6240
	;; [unrolled: 1-line block ×3, first 2 shown]
	v_lshl_add_u32 v20, v155, 4, v45
	scratch_store_b32 off, v24, off offset:864 ; 4-byte Folded Spill
	ds_store_b128 v24, v[80:83] offset:8320
	ds_store_b128 v20, v[16:19] offset:9360
	;; [unrolled: 1-line block ×3, first 2 shown]
	v_mad_u16 v16, 0xc3, v156, v157
	scratch_store_b32 off, v20, off offset:844 ; 4-byte Folded Spill
	ds_store_b128 v20, v[88:91] offset:11440
	v_and_b32_e32 v16, 0xffff, v16
	s_delay_alu instid0(VALU_DEP_1)
	v_lshl_add_u32 v16, v16, 4, v45
	ds_store_b128 v16, v[12:15]
	ds_store_b128 v16, v[93:96] offset:1040
	v_and_b32_e32 v12, 0xffff, v158
	scratch_store_b32 off, v16, off offset:808 ; 4-byte Folded Spill
	ds_store_b128 v16, v[97:100] offset:2080
	v_lshl_add_u32 v12, v12, 4, v45
	ds_store_b128 v12, v[8:11] offset:12480
	ds_store_b128 v12, v[101:104] offset:13520
	v_and_b32_e32 v8, 0xffff, v159
	scratch_store_b32 off, v12, off offset:804 ; 4-byte Folded Spill
	ds_store_b128 v12, v[114:117] offset:14560
	scratch_store_b32 off, v8, off offset:704 ; 4-byte Folded Spill
	s_and_saveexec_b32 s1, s0
	s_cbranch_execz .LBB0_11
; %bb.10:
	v_add_f64 v[4:5], v[4:5], v[40:41]
	v_add_f64 v[2:3], v[6:7], v[2:3]
	s_delay_alu instid0(VALU_DEP_2) | instskip(SKIP_4) | instid1(VALU_DEP_1)
	v_add_f64 v[0:1], v[4:5], v[0:1]
	scratch_load_b32 v5, off, off offset:704 ; 4-byte Folded Reload
	v_add_f64 v[2:3], v[2:3], v[42:43]
	v_lshlrev_b32_e32 v4, 4, v239
	s_waitcnt vmcnt(0)
	v_lshl_add_u32 v4, v5, 4, v4
	ds_store_b128 v4, v[32:35] offset:13520
	ds_store_b128 v4, v[0:3] offset:12480
	scratch_load_b128 v[0:3], off, off offset:20 ; 16-byte Folded Reload
	s_waitcnt vmcnt(0)
	ds_store_b128 v4, v[0:3] offset:14560
.LBB0_11:
	s_or_b32 exec_lo, exec_lo, s1
	scratch_load_b64 v[0:1], off, off       ; 8-byte Folded Reload
	s_waitcnt vmcnt(0)
	v_lshlrev_b32_e32 v1, 6, v130
	s_waitcnt lgkmcnt(0)
	s_waitcnt_vscnt null, 0x0
	s_barrier
	buffer_gl0_inv
	s_mov_b32 s9, 0xbfee6f0e
	s_mov_b32 s12, 0x4755a5e
	;; [unrolled: 1-line block ×4, first 2 shown]
	v_lshlrev_b32_e32 v0, 6, v0
	s_clause 0x7
	global_load_b128 v[38:41], v0, s[2:3] offset:2912
	global_load_b128 v[58:61], v1, s[2:3] offset:2912
	global_load_b128 v[96:99], v0, s[2:3] offset:2928
	global_load_b128 v[76:79], v1, s[2:3] offset:2928
	global_load_b128 v[92:95], v0, s[2:3] offset:2944
	global_load_b128 v[114:117], v0, s[2:3] offset:2960
	global_load_b128 v[88:91], v1, s[2:3] offset:2944
	global_load_b128 v[84:87], v1, s[2:3] offset:2960
	v_lshlrev_b64 v[0:1], 6, v[112:113]
	s_delay_alu instid0(VALU_DEP_1) | instskip(NEXT) | instid1(VALU_DEP_1)
	v_add_co_u32 v0, s1, s2, v0
	v_add_co_ci_u32_e64 v1, s1, s3, v1, s1
	s_clause 0x3
	global_load_b128 v[80:83], v[0:1], off offset:2912
	global_load_b128 v[72:75], v[0:1], off offset:2928
	;; [unrolled: 1-line block ×4, first 2 shown]
	ds_load_b128 v[0:3], v160 offset:3120
	ds_load_b128 v[4:7], v160 offset:3744
	;; [unrolled: 1-line block ×7, first 2 shown]
	s_waitcnt vmcnt(11) lgkmcnt(6)
	v_mul_f64 v[28:29], v[2:3], v[40:41]
	v_mul_f64 v[30:31], v[0:1], v[40:41]
	s_waitcnt vmcnt(10) lgkmcnt(5)
	v_mul_f64 v[36:37], v[6:7], v[60:61]
	v_mul_f64 v[44:45], v[4:5], v[60:61]
	s_waitcnt vmcnt(9) lgkmcnt(4)
	v_mul_f64 v[48:49], v[8:9], v[98:99]
	s_clause 0x1
	scratch_store_b128 off, v[38:41], off offset:740
	scratch_store_b128 off, v[58:61], off offset:756
	s_waitcnt vmcnt(7) lgkmcnt(2)
	v_mul_f64 v[54:55], v[18:19], v[94:95]
	v_mul_f64 v[56:57], v[16:17], v[94:95]
	s_waitcnt vmcnt(5) lgkmcnt(1)
	v_mul_f64 v[60:61], v[24:25], v[90:91]
	s_clause 0x3
	scratch_store_b128 off, v[96:99], off offset:888
	scratch_store_b128 off, v[114:117], off offset:908
	;; [unrolled: 1-line block ×4, first 2 shown]
	v_mul_f64 v[46:47], v[10:11], v[98:99]
	s_waitcnt vmcnt(4)
	s_clause 0x1
	scratch_store_b128 off, v[84:87], off offset:828
	scratch_store_b128 off, v[76:79], off offset:788
	s_waitcnt vmcnt(3)
	scratch_store_b128 off, v[80:83], off offset:812 ; 16-byte Folded Spill
	s_waitcnt vmcnt(2)
	scratch_store_b128 off, v[72:75], off offset:772 ; 16-byte Folded Spill
	s_waitcnt vmcnt(1)
	scratch_store_b128 off, v[68:71], off offset:724 ; 16-byte Folded Spill
	s_waitcnt vmcnt(0)
	scratch_store_b128 off, v[64:67], off offset:708 ; 16-byte Folded Spill
	v_fma_f64 v[42:43], v[0:1], v[38:39], -v[28:29]
	v_fma_f64 v[40:41], v[2:3], v[38:39], v[30:31]
	v_fma_f64 v[38:39], v[4:5], v[58:59], -v[36:37]
	v_fma_f64 v[36:37], v[6:7], v[58:59], v[44:45]
	ds_load_b128 v[4:7], v160 offset:4368
	v_mul_f64 v[50:51], v[14:15], v[78:79]
	v_mul_f64 v[52:53], v[12:13], v[78:79]
	ds_load_b128 v[0:3], v160 offset:13104
	v_fma_f64 v[44:45], v[10:11], v[96:97], v[48:49]
	s_waitcnt lgkmcnt(2)
	v_mul_f64 v[28:29], v[22:23], v[116:117]
	v_mul_f64 v[30:31], v[20:21], v[116:117]
	v_mul_f64 v[58:59], v[26:27], v[90:91]
	v_fma_f64 v[102:103], v[16:17], v[92:93], -v[54:55]
	v_fma_f64 v[100:101], v[18:19], v[92:93], v[56:57]
	v_fma_f64 v[112:113], v[26:27], v[88:89], v[60:61]
	v_fma_f64 v[46:47], v[8:9], v[96:97], -v[46:47]
	ds_load_b128 v[8:11], v160 offset:7488
	s_waitcnt lgkmcnt(2)
	v_mul_f64 v[16:17], v[6:7], v[82:83]
	v_mul_f64 v[18:19], v[4:5], v[82:83]
	v_fma_f64 v[50:51], v[12:13], v[76:77], -v[50:51]
	v_fma_f64 v[48:49], v[14:15], v[76:77], v[52:53]
	s_waitcnt lgkmcnt(1)
	v_mul_f64 v[12:13], v[2:3], v[86:87]
	v_mul_f64 v[14:15], v[0:1], v[86:87]
	v_fma_f64 v[106:107], v[20:21], v[114:115], -v[28:29]
	v_fma_f64 v[104:105], v[22:23], v[114:115], v[30:31]
	v_fma_f64 v[114:115], v[24:25], v[88:89], -v[58:59]
	v_add_f64 v[137:138], v[44:45], -v[100:101]
	v_add_f64 v[120:121], v[46:47], v[102:103]
	v_add_f64 v[141:142], v[46:47], -v[102:103]
	v_fma_f64 v[88:89], v[4:5], v[80:81], -v[16:17]
	v_fma_f64 v[60:61], v[6:7], v[80:81], v[18:19]
	v_fma_f64 v[118:119], v[0:1], v[84:85], -v[12:13]
	v_fma_f64 v[116:117], v[2:3], v[84:85], v[14:15]
	ds_load_b128 v[0:3], v160 offset:10608
	v_add_f64 v[135:136], v[40:41], -v[104:105]
	v_add_f64 v[139:140], v[42:43], -v[106:107]
	s_waitcnt lgkmcnt(0)
	v_mul_f64 v[4:5], v[2:3], v[70:71]
	v_mul_f64 v[6:7], v[0:1], v[70:71]
	s_delay_alu instid0(VALU_DEP_2) | instskip(NEXT) | instid1(VALU_DEP_2)
	v_fma_f64 v[92:93], v[0:1], v[68:69], -v[4:5]
	v_fma_f64 v[62:63], v[2:3], v[68:69], v[6:7]
	ds_load_b128 v[0:3], v160 offset:13728
	s_waitcnt lgkmcnt(0)
	v_mul_f64 v[4:5], v[2:3], v[66:67]
	s_delay_alu instid0(VALU_DEP_1) | instskip(SKIP_1) | instid1(VALU_DEP_1)
	v_fma_f64 v[96:97], v[0:1], v[64:65], -v[4:5]
	v_mul_f64 v[0:1], v[0:1], v[66:67]
	v_fma_f64 v[98:99], v[2:3], v[64:65], v[0:1]
	v_lshlrev_b64 v[0:1], 6, v[108:109]
	s_delay_alu instid0(VALU_DEP_1) | instskip(NEXT) | instid1(VALU_DEP_1)
	v_add_co_u32 v16, s1, s2, v0
	v_add_co_ci_u32_e64 v17, s1, s3, v1, s1
	ds_load_b128 v[0:3], v160 offset:4992
	v_mul_f64 v[12:13], v[10:11], v[74:75]
	v_mul_f64 v[14:15], v[8:9], v[74:75]
	global_load_b128 v[4:7], v[16:17], off offset:2912
	v_fma_f64 v[94:95], v[8:9], v[72:73], -v[12:13]
	v_fma_f64 v[90:91], v[10:11], v[72:73], v[14:15]
	s_waitcnt vmcnt(0) lgkmcnt(0)
	v_mul_f64 v[8:9], v[2:3], v[6:7]
	scratch_store_b128 off, v[4:7], off offset:1100 ; 16-byte Folded Spill
	v_fma_f64 v[58:59], v[0:1], v[4:5], -v[8:9]
	v_mul_f64 v[0:1], v[0:1], v[6:7]
	s_delay_alu instid0(VALU_DEP_1)
	v_fma_f64 v[56:57], v[2:3], v[4:5], v[0:1]
	global_load_b128 v[4:7], v[16:17], off offset:2928
	ds_load_b128 v[0:3], v160 offset:8112
	s_waitcnt vmcnt(0) lgkmcnt(0)
	v_mul_f64 v[12:13], v[2:3], v[6:7]
	scratch_store_b128 off, v[4:7], off offset:1116 ; 16-byte Folded Spill
	v_fma_f64 v[64:65], v[0:1], v[4:5], -v[12:13]
	v_mul_f64 v[0:1], v[0:1], v[6:7]
	s_delay_alu instid0(VALU_DEP_1)
	v_fma_f64 v[66:67], v[2:3], v[4:5], v[0:1]
	global_load_b128 v[4:7], v[16:17], off offset:2944
	ds_load_b128 v[0:3], v160 offset:11232
	;; [unrolled: 9-line block ×3, first 2 shown]
	s_waitcnt vmcnt(0) lgkmcnt(0)
	v_mul_f64 v[20:21], v[2:3], v[6:7]
	scratch_store_b128 off, v[4:7], off offset:1148 ; 16-byte Folded Spill
	v_fma_f64 v[84:85], v[0:1], v[4:5], -v[20:21]
	v_mul_f64 v[0:1], v[0:1], v[6:7]
	s_delay_alu instid0(VALU_DEP_1) | instskip(SKIP_3) | instid1(VALU_DEP_1)
	v_fma_f64 v[86:87], v[2:3], v[4:5], v[0:1]
	v_lshlrev_b64 v[0:1], 6, v[110:111]
	ds_load_b128 v[108:111], v160 offset:14976
	v_add_co_u32 v80, s1, s2, v0
	v_add_co_ci_u32_e64 v81, s1, s3, v1, s1
	ds_load_b128 v[0:3], v160 offset:5616
	s_mov_b32 s2, 0x134454ff
	s_mov_b32 s3, 0x3fee6f0e
	global_load_b128 v[4:7], v[80:81], off offset:2912
	s_mov_b32 s8, s2
	s_waitcnt vmcnt(0) lgkmcnt(0)
	v_mul_f64 v[24:25], v[2:3], v[6:7]
	scratch_store_b128 off, v[4:7], off offset:1164 ; 16-byte Folded Spill
	v_fma_f64 v[54:55], v[0:1], v[4:5], -v[24:25]
	v_mul_f64 v[0:1], v[0:1], v[6:7]
	s_delay_alu instid0(VALU_DEP_1)
	v_fma_f64 v[52:53], v[2:3], v[4:5], v[0:1]
	global_load_b128 v[4:7], v[80:81], off offset:2928
	ds_load_b128 v[0:3], v160 offset:8736
	s_waitcnt vmcnt(0) lgkmcnt(0)
	v_mul_f64 v[28:29], v[2:3], v[6:7]
	scratch_store_b128 off, v[4:7], off offset:1180 ; 16-byte Folded Spill
	v_fma_f64 v[72:73], v[0:1], v[4:5], -v[28:29]
	v_mul_f64 v[0:1], v[0:1], v[6:7]
	s_delay_alu instid0(VALU_DEP_1) | instskip(SKIP_4) | instid1(VALU_DEP_1)
	v_fma_f64 v[74:75], v[2:3], v[4:5], v[0:1]
	global_load_b128 v[4:7], v[80:81], off offset:2944
	ds_load_b128 v[0:3], v160 offset:11856
	s_waitcnt vmcnt(0) lgkmcnt(0)
	v_mul_f64 v[76:77], v[2:3], v[6:7]
	v_fma_f64 v[78:79], v[0:1], v[4:5], -v[76:77]
	v_mul_f64 v[0:1], v[0:1], v[6:7]
	s_delay_alu instid0(VALU_DEP_1)
	v_fma_f64 v[76:77], v[2:3], v[4:5], v[0:1]
	global_load_b128 v[0:3], v[80:81], off offset:2960
	scratch_store_b128 off, v[4:7], off offset:1196 ; 16-byte Folded Spill
	s_waitcnt vmcnt(0)
	scratch_store_b128 off, v[0:3], off offset:1084 ; 16-byte Folded Spill
	v_mul_f64 v[80:81], v[110:111], v[2:3]
	v_mul_f64 v[82:83], v[108:109], v[2:3]
	s_delay_alu instid0(VALU_DEP_2) | instskip(NEXT) | instid1(VALU_DEP_2)
	v_fma_f64 v[80:81], v[108:109], v[0:1], -v[80:81]
	v_fma_f64 v[82:83], v[110:111], v[0:1], v[82:83]
	v_add_f64 v[108:109], v[42:43], -v[46:47]
	v_add_f64 v[110:111], v[106:107], -v[102:103]
	s_delay_alu instid0(VALU_DEP_1) | instskip(SKIP_2) | instid1(VALU_DEP_1)
	v_add_f64 v[124:125], v[108:109], v[110:111]
	v_add_f64 v[108:109], v[40:41], -v[44:45]
	v_add_f64 v[110:111], v[104:105], -v[100:101]
	v_add_f64 v[126:127], v[108:109], v[110:111]
	ds_load_b128 v[108:111], v160
	s_waitcnt lgkmcnt(0)
	v_fma_f64 v[128:129], v[120:121], -0.5, v[108:109]
	v_add_f64 v[120:121], v[44:45], v[100:101]
	s_delay_alu instid0(VALU_DEP_1) | instskip(NEXT) | instid1(VALU_DEP_3)
	v_fma_f64 v[130:131], v[120:121], -0.5, v[110:111]
	v_fma_f64 v[120:121], v[135:136], s[2:3], v[128:129]
	v_fma_f64 v[128:129], v[135:136], s[8:9], v[128:129]
	s_delay_alu instid0(VALU_DEP_3) | instskip(SKIP_1) | instid1(VALU_DEP_4)
	v_fma_f64 v[122:123], v[139:140], s[8:9], v[130:131]
	v_fma_f64 v[130:131], v[139:140], s[2:3], v[130:131]
	;; [unrolled: 1-line block ×3, first 2 shown]
	s_delay_alu instid0(VALU_DEP_4) | instskip(NEXT) | instid1(VALU_DEP_4)
	v_fma_f64 v[128:129], v[137:138], s[14:15], v[128:129]
	v_fma_f64 v[122:123], v[141:142], s[14:15], v[122:123]
	s_delay_alu instid0(VALU_DEP_4) | instskip(NEXT) | instid1(VALU_DEP_4)
	v_fma_f64 v[130:131], v[141:142], s[12:13], v[130:131]
	v_fma_f64 v[120:121], v[124:125], s[16:17], v[120:121]
	s_delay_alu instid0(VALU_DEP_4) | instskip(SKIP_4) | instid1(VALU_DEP_4)
	v_fma_f64 v[124:125], v[124:125], s[16:17], v[128:129]
	v_add_f64 v[128:129], v[42:43], v[106:107]
	v_fma_f64 v[122:123], v[126:127], s[16:17], v[122:123]
	v_fma_f64 v[126:127], v[126:127], s[16:17], v[130:131]
	v_add_f64 v[130:131], v[40:41], v[104:105]
	v_fma_f64 v[128:129], v[128:129], -0.5, v[108:109]
	v_add_f64 v[108:109], v[108:109], v[42:43]
	v_add_f64 v[42:43], v[46:47], -v[42:43]
	s_delay_alu instid0(VALU_DEP_4) | instskip(SKIP_3) | instid1(VALU_DEP_3)
	v_fma_f64 v[130:131], v[130:131], -0.5, v[110:111]
	v_add_f64 v[110:111], v[110:111], v[40:41]
	v_add_f64 v[40:41], v[44:45], -v[40:41]
	v_add_f64 v[46:47], v[108:109], v[46:47]
	v_add_f64 v[108:109], v[110:111], v[44:45]
	v_fma_f64 v[110:111], v[141:142], s[8:9], v[130:131]
	s_delay_alu instid0(VALU_DEP_3) | instskip(SKIP_1) | instid1(VALU_DEP_4)
	v_add_f64 v[44:45], v[46:47], v[102:103]
	v_add_f64 v[102:103], v[102:103], -v[106:107]
	v_add_f64 v[46:47], v[108:109], v[100:101]
	s_delay_alu instid0(VALU_DEP_3)
	v_add_f64 v[106:107], v[44:45], v[106:107]
	v_add_f64 v[44:45], v[100:101], -v[104:105]
	v_fma_f64 v[100:101], v[137:138], s[2:3], v[128:129]
	v_add_f64 v[42:43], v[42:43], v[102:103]
	v_add_f64 v[108:109], v[46:47], v[104:105]
	v_fma_f64 v[46:47], v[137:138], s[8:9], v[128:129]
	v_fma_f64 v[104:105], v[141:142], s[2:3], v[130:131]
	v_add_f64 v[40:41], v[40:41], v[44:45]
	v_add_f64 v[128:129], v[36:37], -v[116:117]
	v_add_f64 v[137:138], v[38:39], -v[118:119]
	;; [unrolled: 1-line block ×3, first 2 shown]
	v_fma_f64 v[44:45], v[135:136], s[12:13], v[46:47]
	v_fma_f64 v[46:47], v[135:136], s[14:15], v[100:101]
	;; [unrolled: 1-line block ×4, first 2 shown]
	v_add_f64 v[110:111], v[48:49], v[112:113]
	v_add_f64 v[139:140], v[50:51], -v[114:115]
	v_fma_f64 v[100:101], v[42:43], s[16:17], v[44:45]
	v_fma_f64 v[144:145], v[42:43], s[16:17], v[46:47]
	;; [unrolled: 1-line block ×4, first 2 shown]
	v_add_f64 v[40:41], v[38:39], -v[50:51]
	v_add_f64 v[42:43], v[118:119], -v[114:115]
	v_add_f64 v[104:105], v[50:51], v[114:115]
	s_delay_alu instid0(VALU_DEP_2) | instskip(SKIP_2) | instid1(VALU_DEP_1)
	v_add_f64 v[44:45], v[40:41], v[42:43]
	v_add_f64 v[40:41], v[36:37], -v[48:49]
	v_add_f64 v[42:43], v[116:117], -v[112:113]
	v_add_f64 v[46:47], v[40:41], v[42:43]
	ds_load_b128 v[40:43], v160 offset:624
	s_waitcnt lgkmcnt(0)
	v_fma_f64 v[104:105], v[104:105], -0.5, v[40:41]
	v_fma_f64 v[110:111], v[110:111], -0.5, v[42:43]
	s_delay_alu instid0(VALU_DEP_2) | instskip(NEXT) | instid1(VALU_DEP_2)
	v_fma_f64 v[135:136], v[128:129], s[2:3], v[104:105]
	v_fma_f64 v[141:142], v[137:138], s[8:9], v[110:111]
	;; [unrolled: 1-line block ×4, first 2 shown]
	s_delay_alu instid0(VALU_DEP_4) | instskip(NEXT) | instid1(VALU_DEP_4)
	v_fma_f64 v[135:136], v[130:131], s[12:13], v[135:136]
	v_fma_f64 v[141:142], v[139:140], s[14:15], v[141:142]
	s_delay_alu instid0(VALU_DEP_4) | instskip(NEXT) | instid1(VALU_DEP_4)
	v_fma_f64 v[104:105], v[130:131], s[14:15], v[104:105]
	v_fma_f64 v[110:111], v[139:140], s[12:13], v[110:111]
	;; [unrolled: 3-line block ×4, first 2 shown]
	v_add_f64 v[44:45], v[38:39], v[118:119]
	v_add_f64 v[46:47], v[36:37], v[116:117]
	v_add_f64 v[135:136], v[94:95], -v[92:93]
	s_delay_alu instid0(VALU_DEP_3) | instskip(NEXT) | instid1(VALU_DEP_3)
	v_fma_f64 v[44:45], v[44:45], -0.5, v[40:41]
	v_fma_f64 v[46:47], v[46:47], -0.5, v[42:43]
	v_add_f64 v[40:41], v[40:41], v[38:39]
	v_add_f64 v[42:43], v[42:43], v[36:37]
	v_add_f64 v[38:39], v[50:51], -v[38:39]
	v_add_f64 v[36:37], v[48:49], -v[36:37]
	s_delay_alu instid0(VALU_DEP_4) | instskip(NEXT) | instid1(VALU_DEP_4)
	v_add_f64 v[40:41], v[40:41], v[50:51]
	v_add_f64 v[42:43], v[42:43], v[48:49]
	v_add_f64 v[48:49], v[114:115], -v[118:119]
	v_fma_f64 v[50:51], v[139:140], s[2:3], v[46:47]
	v_fma_f64 v[46:47], v[139:140], s[8:9], v[46:47]
	v_add_f64 v[40:41], v[40:41], v[114:115]
	v_add_f64 v[42:43], v[42:43], v[112:113]
	;; [unrolled: 1-line block ×3, first 2 shown]
	v_add_f64 v[48:49], v[60:61], -v[98:99]
	v_fma_f64 v[46:47], v[137:138], s[12:13], v[46:47]
	v_add_f64 v[156:157], v[40:41], v[118:119]
	v_add_f64 v[158:159], v[42:43], v[116:117]
	v_add_f64 v[40:41], v[112:113], -v[116:117]
	v_fma_f64 v[42:43], v[130:131], s[8:9], v[44:45]
	v_fma_f64 v[44:45], v[130:131], s[2:3], v[44:45]
	v_add_f64 v[118:119], v[88:89], -v[96:97]
	s_delay_alu instid0(VALU_DEP_4) | instskip(NEXT) | instid1(VALU_DEP_4)
	v_add_f64 v[36:37], v[36:37], v[40:41]
	v_fma_f64 v[40:41], v[128:129], s[12:13], v[42:43]
	s_delay_alu instid0(VALU_DEP_4)
	v_fma_f64 v[42:43], v[128:129], s[14:15], v[44:45]
	v_fma_f64 v[44:45], v[137:138], s[14:15], v[50:51]
	v_add_f64 v[50:51], v[90:91], -v[62:63]
	v_fma_f64 v[116:117], v[36:37], s[16:17], v[46:47]
	v_fma_f64 v[110:111], v[38:39], s[16:17], v[40:41]
	;; [unrolled: 1-line block ×4, first 2 shown]
	v_add_f64 v[36:37], v[88:89], -v[94:95]
	v_add_f64 v[38:39], v[96:97], -v[92:93]
	v_add_f64 v[44:45], v[94:95], v[92:93]
	v_add_f64 v[46:47], v[90:91], v[62:63]
	s_delay_alu instid0(VALU_DEP_3) | instskip(SKIP_2) | instid1(VALU_DEP_1)
	v_add_f64 v[40:41], v[36:37], v[38:39]
	v_add_f64 v[36:37], v[60:61], -v[90:91]
	v_add_f64 v[38:39], v[98:99], -v[62:63]
	v_add_f64 v[42:43], v[36:37], v[38:39]
	ds_load_b128 v[36:39], v160 offset:1248
	s_waitcnt lgkmcnt(0)
	v_fma_f64 v[44:45], v[44:45], -0.5, v[36:37]
	v_fma_f64 v[46:47], v[46:47], -0.5, v[38:39]
	s_delay_alu instid0(VALU_DEP_2) | instskip(NEXT) | instid1(VALU_DEP_2)
	v_fma_f64 v[104:105], v[48:49], s[2:3], v[44:45]
	v_fma_f64 v[128:129], v[118:119], s[8:9], v[46:47]
	;; [unrolled: 1-line block ×4, first 2 shown]
	s_delay_alu instid0(VALU_DEP_4) | instskip(NEXT) | instid1(VALU_DEP_4)
	v_fma_f64 v[104:105], v[50:51], s[12:13], v[104:105]
	v_fma_f64 v[130:131], v[135:136], s[14:15], v[128:129]
	s_delay_alu instid0(VALU_DEP_4) | instskip(NEXT) | instid1(VALU_DEP_4)
	v_fma_f64 v[44:45], v[50:51], s[14:15], v[44:45]
	v_fma_f64 v[46:47], v[135:136], s[12:13], v[46:47]
	;; [unrolled: 3-line block ×4, first 2 shown]
	v_add_f64 v[40:41], v[88:89], v[96:97]
	v_add_f64 v[42:43], v[60:61], v[98:99]
	v_add_f64 v[44:45], v[94:95], -v[88:89]
	v_add_f64 v[46:47], v[90:91], -v[60:61]
	;; [unrolled: 1-line block ×3, first 2 shown]
	v_fma_f64 v[40:41], v[40:41], -0.5, v[36:37]
	v_fma_f64 v[42:43], v[42:43], -0.5, v[38:39]
	v_add_f64 v[36:37], v[36:37], v[88:89]
	v_add_f64 v[38:39], v[38:39], v[60:61]
	v_add_f64 v[60:61], v[92:93], -v[96:97]
	s_delay_alu instid0(VALU_DEP_3) | instskip(NEXT) | instid1(VALU_DEP_3)
	v_add_f64 v[36:37], v[36:37], v[94:95]
	v_add_f64 v[38:39], v[38:39], v[90:91]
	s_delay_alu instid0(VALU_DEP_3) | instskip(NEXT) | instid1(VALU_DEP_3)
	v_add_f64 v[44:45], v[44:45], v[60:61]
	v_add_f64 v[36:37], v[36:37], v[92:93]
	s_delay_alu instid0(VALU_DEP_3) | instskip(NEXT) | instid1(VALU_DEP_2)
	v_add_f64 v[38:39], v[38:39], v[62:63]
	v_add_f64 v[88:89], v[36:37], v[96:97]
	s_delay_alu instid0(VALU_DEP_2)
	v_add_f64 v[90:91], v[38:39], v[98:99]
	v_add_f64 v[36:37], v[62:63], -v[98:99]
	v_fma_f64 v[38:39], v[50:51], s[8:9], v[40:41]
	v_fma_f64 v[40:41], v[50:51], s[2:3], v[40:41]
	;; [unrolled: 1-line block ×4, first 2 shown]
	v_add_f64 v[96:97], v[56:57], -v[86:87]
	v_add_f64 v[98:99], v[66:67], -v[68:69]
	;; [unrolled: 1-line block ×3, first 2 shown]
	v_add_f64 v[36:37], v[46:47], v[36:37]
	v_fma_f64 v[38:39], v[48:49], s[12:13], v[38:39]
	v_fma_f64 v[40:41], v[48:49], s[14:15], v[40:41]
	;; [unrolled: 1-line block ×4, first 2 shown]
	v_add_f64 v[48:49], v[64:65], v[70:71]
	v_add_f64 v[50:51], v[66:67], v[68:69]
	v_add_f64 v[118:119], v[64:65], -v[70:71]
	v_fma_f64 v[92:93], v[44:45], s[16:17], v[38:39]
	v_add_f64 v[38:39], v[84:85], -v[70:71]
	v_fma_f64 v[94:95], v[36:37], s[16:17], v[46:47]
	v_fma_f64 v[42:43], v[36:37], s[16:17], v[42:43]
	v_add_f64 v[36:37], v[58:59], -v[64:65]
	v_fma_f64 v[40:41], v[44:45], s[16:17], v[40:41]
	s_delay_alu instid0(VALU_DEP_2) | instskip(SKIP_2) | instid1(VALU_DEP_1)
	v_add_f64 v[44:45], v[36:37], v[38:39]
	v_add_f64 v[36:37], v[56:57], -v[66:67]
	v_add_f64 v[38:39], v[86:87], -v[68:69]
	v_add_f64 v[46:47], v[36:37], v[38:39]
	ds_load_b128 v[36:39], v160 offset:1872
	s_waitcnt lgkmcnt(0)
	v_fma_f64 v[48:49], v[48:49], -0.5, v[36:37]
	v_fma_f64 v[50:51], v[50:51], -0.5, v[38:39]
	s_delay_alu instid0(VALU_DEP_2) | instskip(NEXT) | instid1(VALU_DEP_2)
	v_fma_f64 v[60:61], v[96:97], s[2:3], v[48:49]
	v_fma_f64 v[62:63], v[104:105], s[8:9], v[50:51]
	;; [unrolled: 1-line block ×4, first 2 shown]
	s_delay_alu instid0(VALU_DEP_4) | instskip(NEXT) | instid1(VALU_DEP_4)
	v_fma_f64 v[60:61], v[98:99], s[12:13], v[60:61]
	v_fma_f64 v[62:63], v[118:119], s[14:15], v[62:63]
	s_delay_alu instid0(VALU_DEP_4) | instskip(NEXT) | instid1(VALU_DEP_4)
	v_fma_f64 v[48:49], v[98:99], s[14:15], v[48:49]
	v_fma_f64 v[50:51], v[118:119], s[12:13], v[50:51]
	;; [unrolled: 3-line block ×4, first 2 shown]
	v_add_f64 v[44:45], v[58:59], v[84:85]
	v_add_f64 v[46:47], v[56:57], v[86:87]
	v_add_f64 v[48:49], v[64:65], -v[58:59]
	v_add_f64 v[50:51], v[66:67], -v[56:57]
	s_delay_alu instid0(VALU_DEP_4) | instskip(NEXT) | instid1(VALU_DEP_4)
	v_fma_f64 v[44:45], v[44:45], -0.5, v[36:37]
	v_fma_f64 v[46:47], v[46:47], -0.5, v[38:39]
	v_add_f64 v[36:37], v[36:37], v[58:59]
	v_add_f64 v[38:39], v[38:39], v[56:57]
	v_add_f64 v[56:57], v[70:71], -v[84:85]
	s_delay_alu instid0(VALU_DEP_4) | instskip(NEXT) | instid1(VALU_DEP_4)
	v_fma_f64 v[58:59], v[118:119], s[2:3], v[46:47]
	v_add_f64 v[36:37], v[36:37], v[64:65]
	s_delay_alu instid0(VALU_DEP_4)
	v_add_f64 v[38:39], v[38:39], v[66:67]
	v_fma_f64 v[46:47], v[118:119], s[8:9], v[46:47]
	v_add_f64 v[48:49], v[48:49], v[56:57]
	v_add_f64 v[118:119], v[54:55], -v[80:81]
	v_add_f64 v[36:37], v[36:37], v[70:71]
	v_add_f64 v[38:39], v[38:39], v[68:69]
	v_fma_f64 v[46:47], v[104:105], s[12:13], v[46:47]
	s_delay_alu instid0(VALU_DEP_3) | instskip(NEXT) | instid1(VALU_DEP_3)
	v_add_f64 v[64:65], v[36:37], v[84:85]
	v_add_f64 v[66:67], v[38:39], v[86:87]
	v_add_f64 v[36:37], v[68:69], -v[86:87]
	v_fma_f64 v[38:39], v[98:99], s[8:9], v[44:45]
	v_fma_f64 v[44:45], v[98:99], s[2:3], v[44:45]
	v_add_f64 v[98:99], v[52:53], -v[82:83]
	s_delay_alu instid0(VALU_DEP_4) | instskip(NEXT) | instid1(VALU_DEP_4)
	v_add_f64 v[36:37], v[50:51], v[36:37]
	v_fma_f64 v[38:39], v[96:97], s[12:13], v[38:39]
	v_fma_f64 v[50:51], v[104:105], s[14:15], v[58:59]
	;; [unrolled: 1-line block ×3, first 2 shown]
	v_add_f64 v[96:97], v[74:75], -v[76:77]
	v_add_f64 v[104:105], v[72:73], -v[78:79]
	v_fma_f64 v[58:59], v[36:37], s[16:17], v[46:47]
	v_fma_f64 v[68:69], v[48:49], s[16:17], v[38:39]
	;; [unrolled: 1-line block ×3, first 2 shown]
	v_add_f64 v[36:37], v[72:73], -v[54:55]
	v_add_f64 v[38:39], v[78:79], -v[80:81]
	v_fma_f64 v[56:57], v[48:49], s[16:17], v[44:45]
	v_add_f64 v[48:49], v[54:55], v[80:81]
	s_delay_alu instid0(VALU_DEP_3) | instskip(SKIP_2) | instid1(VALU_DEP_1)
	v_add_f64 v[44:45], v[36:37], v[38:39]
	v_add_f64 v[36:37], v[74:75], -v[52:53]
	v_add_f64 v[38:39], v[76:77], -v[82:83]
	v_add_f64 v[46:47], v[36:37], v[38:39]
	ds_load_b128 v[36:39], v160 offset:2496
	ds_store_b128 v160, v[106:109]
	ds_store_b128 v160, v[156:159] offset:624
	ds_store_b128 v160, v[88:91] offset:1248
	;; [unrolled: 1-line block ×10, first 2 shown]
	s_waitcnt lgkmcnt(11)
	v_fma_f64 v[84:85], v[48:49], -0.5, v[36:37]
	v_add_f64 v[48:49], v[52:53], v[82:83]
	s_delay_alu instid0(VALU_DEP_1) | instskip(NEXT) | instid1(VALU_DEP_3)
	v_fma_f64 v[86:87], v[48:49], -0.5, v[38:39]
	v_fma_f64 v[48:49], v[96:97], s[8:9], v[84:85]
	v_fma_f64 v[84:85], v[96:97], s[2:3], v[84:85]
	s_delay_alu instid0(VALU_DEP_3) | instskip(SKIP_1) | instid1(VALU_DEP_4)
	v_fma_f64 v[50:51], v[104:105], s[2:3], v[86:87]
	v_fma_f64 v[86:87], v[104:105], s[8:9], v[86:87]
	;; [unrolled: 1-line block ×3, first 2 shown]
	s_delay_alu instid0(VALU_DEP_4) | instskip(NEXT) | instid1(VALU_DEP_4)
	v_fma_f64 v[84:85], v[98:99], s[14:15], v[84:85]
	v_fma_f64 v[50:51], v[118:119], s[14:15], v[50:51]
	s_delay_alu instid0(VALU_DEP_4) | instskip(NEXT) | instid1(VALU_DEP_4)
	v_fma_f64 v[86:87], v[118:119], s[12:13], v[86:87]
	v_fma_f64 v[48:49], v[44:45], s[16:17], v[48:49]
	s_delay_alu instid0(VALU_DEP_4) | instskip(SKIP_4) | instid1(VALU_DEP_4)
	v_fma_f64 v[44:45], v[44:45], s[16:17], v[84:85]
	v_add_f64 v[84:85], v[72:73], v[78:79]
	v_fma_f64 v[50:51], v[46:47], s[16:17], v[50:51]
	v_fma_f64 v[46:47], v[46:47], s[16:17], v[86:87]
	v_add_f64 v[86:87], v[74:75], v[76:77]
	v_fma_f64 v[84:85], v[84:85], -0.5, v[36:37]
	v_add_f64 v[36:37], v[36:37], v[54:55]
	s_delay_alu instid0(VALU_DEP_3) | instskip(SKIP_1) | instid1(VALU_DEP_3)
	v_fma_f64 v[86:87], v[86:87], -0.5, v[38:39]
	v_add_f64 v[38:39], v[38:39], v[52:53]
	v_add_f64 v[36:37], v[36:37], v[72:73]
	v_add_f64 v[72:73], v[52:53], -v[74:75]
	s_delay_alu instid0(VALU_DEP_3) | instskip(SKIP_1) | instid1(VALU_DEP_4)
	v_add_f64 v[38:39], v[38:39], v[74:75]
	v_add_f64 v[74:75], v[80:81], -v[78:79]
	v_add_f64 v[36:37], v[36:37], v[78:79]
	v_fma_f64 v[78:79], v[118:119], s[8:9], v[86:87]
	s_delay_alu instid0(VALU_DEP_4) | instskip(NEXT) | instid1(VALU_DEP_4)
	v_add_f64 v[38:39], v[38:39], v[76:77]
	v_add_f64 v[74:75], v[135:136], v[74:75]
	s_delay_alu instid0(VALU_DEP_4)
	v_add_f64 v[52:53], v[36:37], v[80:81]
	v_add_f64 v[36:37], v[82:83], -v[76:77]
	v_fma_f64 v[76:77], v[98:99], s[8:9], v[84:85]
	v_fma_f64 v[80:81], v[118:119], s[2:3], v[86:87]
	v_lshl_add_u32 v135, v239, 4, v238
	v_add_f64 v[54:55], v[38:39], v[82:83]
	v_fma_f64 v[38:39], v[98:99], s[2:3], v[84:85]
	v_add_f64 v[72:73], v[72:73], v[36:37]
	s_delay_alu instid0(VALU_DEP_2) | instskip(SKIP_3) | instid1(VALU_DEP_4)
	v_fma_f64 v[36:37], v[96:97], s[12:13], v[38:39]
	v_fma_f64 v[38:39], v[96:97], s[14:15], v[76:77]
	;; [unrolled: 1-line block ×5, first 2 shown]
	s_delay_alu instid0(VALU_DEP_4) | instskip(NEXT) | instid1(VALU_DEP_4)
	v_fma_f64 v[36:37], v[74:75], s[16:17], v[38:39]
	v_fma_f64 v[138:139], v[72:73], s[16:17], v[76:77]
	s_delay_alu instid0(VALU_DEP_4)
	v_fma_f64 v[38:39], v[72:73], s[16:17], v[78:79]
	ds_store_b128 v135, v[128:131] offset:4368
	ds_store_b128 v135, v[92:95] offset:7488
	;; [unrolled: 1-line block ×14, first 2 shown]
	s_waitcnt lgkmcnt(0)
	s_waitcnt_vscnt null, 0x0
	s_barrier
	buffer_gl0_inv
	scratch_load_b64 v[0:1], off, off offset:8 ; 8-byte Folded Reload
	ds_load_b128 v[76:79], v160
	ds_load_b128 v[94:97], v160 offset:3600
	ds_load_b128 v[112:115], v160 offset:7200
	;; [unrolled: 1-line block ×10, first 2 shown]
	s_waitcnt vmcnt(0)
	global_load_b128 v[72:75], v[0:1], off offset:3312
	s_waitcnt vmcnt(0) lgkmcnt(10)
	v_mul_f64 v[80:81], v[78:79], v[74:75]
	v_mul_f64 v[82:83], v[76:77], v[74:75]
	s_delay_alu instid0(VALU_DEP_2) | instskip(NEXT) | instid1(VALU_DEP_2)
	v_fma_f64 v[74:75], v[76:77], v[72:73], -v[80:81]
	v_fma_f64 v[76:77], v[78:79], v[72:73], v[82:83]
	v_add_co_u32 v72, s1, 0x3cf0, v132
	s_delay_alu instid0(VALU_DEP_1)
	v_add_co_ci_u32_e64 v73, s1, 0, v133, s1
	ds_load_b128 v[82:85], v160 offset:1200
	global_load_b128 v[78:81], v[72:73], off offset:1200
	s_waitcnt vmcnt(0) lgkmcnt(0)
	v_mul_f64 v[86:87], v[84:85], v[80:81]
	v_mul_f64 v[88:89], v[82:83], v[80:81]
	s_delay_alu instid0(VALU_DEP_2) | instskip(NEXT) | instid1(VALU_DEP_2)
	v_fma_f64 v[80:81], v[82:83], v[78:79], -v[86:87]
	v_fma_f64 v[82:83], v[84:85], v[78:79], v[88:89]
	global_load_b128 v[84:87], v[72:73], off offset:2400
	ds_load_b128 v[88:91], v160 offset:2400
	s_waitcnt vmcnt(0) lgkmcnt(0)
	v_mul_f64 v[78:79], v[90:91], v[86:87]
	v_mul_f64 v[92:93], v[88:89], v[86:87]
	s_delay_alu instid0(VALU_DEP_2) | instskip(NEXT) | instid1(VALU_DEP_2)
	v_fma_f64 v[86:87], v[88:89], v[84:85], -v[78:79]
	v_fma_f64 v[88:89], v[90:91], v[84:85], v[92:93]
	global_load_b128 v[90:93], v[72:73], off offset:3600
	s_waitcnt vmcnt(0)
	v_mul_f64 v[78:79], v[96:97], v[92:93]
	v_mul_f64 v[84:85], v[94:95], v[92:93]
	s_delay_alu instid0(VALU_DEP_2) | instskip(SKIP_1) | instid1(VALU_DEP_1)
	v_fma_f64 v[92:93], v[94:95], v[90:91], -v[78:79]
	v_add_co_u32 v78, s1, 0x4000, v132
	v_add_co_ci_u32_e64 v79, s1, 0, v133, s1
	s_delay_alu instid0(VALU_DEP_4) | instskip(SKIP_4) | instid1(VALU_DEP_2)
	v_fma_f64 v[94:95], v[96:97], v[90:91], v[84:85]
	global_load_b128 v[96:99], v[78:79], off offset:4016
	s_waitcnt vmcnt(0)
	v_mul_f64 v[78:79], v[102:103], v[98:99]
	v_mul_f64 v[84:85], v[100:101], v[98:99]
	v_fma_f64 v[98:99], v[100:101], v[96:97], -v[78:79]
	v_add_co_u32 v78, s1, 0x5000, v132
	s_delay_alu instid0(VALU_DEP_1) | instskip(NEXT) | instid1(VALU_DEP_4)
	v_add_co_ci_u32_e64 v79, s1, 0, v133, s1
	v_fma_f64 v[100:101], v[102:103], v[96:97], v[84:85]
	global_load_b128 v[102:105], v[78:79], off offset:1120
	s_waitcnt vmcnt(0)
	v_mul_f64 v[84:85], v[108:109], v[104:105]
	v_mul_f64 v[90:91], v[106:107], v[104:105]
	s_delay_alu instid0(VALU_DEP_2) | instskip(NEXT) | instid1(VALU_DEP_2)
	v_fma_f64 v[104:105], v[106:107], v[102:103], -v[84:85]
	v_fma_f64 v[106:107], v[108:109], v[102:103], v[90:91]
	global_load_b128 v[108:111], v[78:79], off offset:2320
	s_waitcnt vmcnt(0)
	v_mul_f64 v[84:85], v[114:115], v[110:111]
	v_mul_f64 v[90:91], v[112:113], v[110:111]
	s_delay_alu instid0(VALU_DEP_2) | instskip(NEXT) | instid1(VALU_DEP_2)
	v_fma_f64 v[110:111], v[112:113], v[108:109], -v[84:85]
	v_fma_f64 v[112:113], v[114:115], v[108:109], v[90:91]
	global_load_b128 v[114:117], v[78:79], off offset:3520
	s_waitcnt vmcnt(0)
	v_mul_f64 v[78:79], v[120:121], v[116:117]
	v_mul_f64 v[84:85], v[118:119], v[116:117]
	s_delay_alu instid0(VALU_DEP_2) | instskip(SKIP_1) | instid1(VALU_DEP_1)
	v_fma_f64 v[116:117], v[118:119], v[114:115], -v[78:79]
	v_add_co_u32 v78, s1, 0x6000, v132
	v_add_co_ci_u32_e64 v79, s1, 0, v133, s1
	s_delay_alu instid0(VALU_DEP_4) | instskip(SKIP_4) | instid1(VALU_DEP_2)
	v_fma_f64 v[118:119], v[120:121], v[114:115], v[84:85]
	global_load_b128 v[120:123], v[78:79], off offset:624
	s_waitcnt vmcnt(0)
	v_mul_f64 v[84:85], v[126:127], v[122:123]
	v_mul_f64 v[90:91], v[124:125], v[122:123]
	v_fma_f64 v[122:123], v[124:125], v[120:121], -v[84:85]
	s_delay_alu instid0(VALU_DEP_2) | instskip(SKIP_4) | instid1(VALU_DEP_2)
	v_fma_f64 v[124:125], v[126:127], v[120:121], v[90:91]
	global_load_b128 v[126:129], v[78:79], off offset:1824
	s_waitcnt vmcnt(0)
	v_mul_f64 v[84:85], v[146:147], v[128:129]
	v_mul_f64 v[90:91], v[144:145], v[128:129]
	v_fma_f64 v[128:129], v[144:145], v[126:127], -v[84:85]
	s_delay_alu instid0(VALU_DEP_2) | instskip(SKIP_4) | instid1(VALU_DEP_2)
	v_fma_f64 v[130:131], v[146:147], v[126:127], v[90:91]
	global_load_b128 v[144:147], v[78:79], off offset:3024
	s_waitcnt vmcnt(0)
	v_mul_f64 v[78:79], v[150:151], v[146:147]
	v_mul_f64 v[84:85], v[148:149], v[146:147]
	v_fma_f64 v[146:147], v[148:149], v[144:145], -v[78:79]
	v_add_co_u32 v78, s1, 0x7000, v132
	s_delay_alu instid0(VALU_DEP_1) | instskip(NEXT) | instid1(VALU_DEP_4)
	v_add_co_ci_u32_e64 v79, s1, 0, v133, s1
	v_fma_f64 v[148:149], v[150:151], v[144:145], v[84:85]
	global_load_b128 v[150:153], v[78:79], off offset:128
	s_waitcnt vmcnt(0)
	v_mul_f64 v[84:85], v[156:157], v[152:153]
	v_mul_f64 v[90:91], v[154:155], v[152:153]
	s_delay_alu instid0(VALU_DEP_2) | instskip(NEXT) | instid1(VALU_DEP_2)
	v_fma_f64 v[152:153], v[154:155], v[150:151], -v[84:85]
	v_fma_f64 v[154:155], v[156:157], v[150:151], v[90:91]
	global_load_b128 v[156:159], v[78:79], off offset:1328
	s_waitcnt vmcnt(0)
	v_mul_f64 v[78:79], v[166:167], v[158:159]
	v_mul_f64 v[84:85], v[164:165], v[158:159]
	s_delay_alu instid0(VALU_DEP_2) | instskip(NEXT) | instid1(VALU_DEP_2)
	v_fma_f64 v[164:165], v[164:165], v[156:157], -v[78:79]
	v_fma_f64 v[166:167], v[166:167], v[156:157], v[84:85]
	ds_store_b128 v160, v[74:77]
	ds_store_b128 v160, v[80:83] offset:1200
	ds_store_b128 v160, v[86:89] offset:2400
	;; [unrolled: 1-line block ×12, first 2 shown]
	s_and_saveexec_b32 s2, vcc_lo
	s_cbranch_execz .LBB0_13
; %bb.12:
	s_clause 0x1
	global_load_b128 v[74:77], v[72:73], off offset:624
	global_load_b128 v[78:81], v[72:73], off offset:1824
	v_add_co_u32 v98, s1, 0x1000, v72
	s_delay_alu instid0(VALU_DEP_1)
	v_add_co_ci_u32_e64 v99, s1, 0, v73, s1
	global_load_b128 v[82:85], v[72:73], off offset:3024
	v_add_co_u32 v110, s1, 0x2000, v72
	s_clause 0x3
	global_load_b128 v[86:89], v[98:99], off offset:128
	global_load_b128 v[90:93], v[98:99], off offset:1328
	;; [unrolled: 1-line block ×4, first 2 shown]
	v_add_co_ci_u32_e64 v111, s1, 0, v73, s1
	v_add_co_u32 v72, s1, 0x3000, v72
	s_clause 0x1
	global_load_b128 v[102:105], v[110:111], off offset:832
	global_load_b128 v[106:109], v[110:111], off offset:2032
	v_add_co_ci_u32_e64 v73, s1, 0, v73, s1
	s_clause 0x3
	global_load_b128 v[110:113], v[110:111], off offset:3232
	global_load_b128 v[114:117], v[72:73], off offset:336
	;; [unrolled: 1-line block ×4, first 2 shown]
	ds_load_b128 v[126:129], v160 offset:624
	ds_load_b128 v[144:147], v160 offset:1824
	;; [unrolled: 1-line block ×7, first 2 shown]
	s_waitcnt vmcnt(12) lgkmcnt(6)
	v_mul_f64 v[72:73], v[128:129], v[76:77]
	v_mul_f64 v[76:77], v[126:127], v[76:77]
	s_waitcnt vmcnt(11) lgkmcnt(5)
	v_mul_f64 v[130:131], v[146:147], v[80:81]
	v_mul_f64 v[80:81], v[144:145], v[80:81]
	;; [unrolled: 3-line block ×7, first 2 shown]
	v_fma_f64 v[72:73], v[126:127], v[74:75], -v[72:73]
	v_fma_f64 v[74:75], v[128:129], v[74:75], v[76:77]
	ds_load_b128 v[126:129], v160 offset:9024
	v_fma_f64 v[76:77], v[144:145], v[78:79], -v[130:131]
	v_fma_f64 v[78:79], v[146:147], v[78:79], v[80:81]
	ds_load_b128 v[144:147], v160 offset:10224
	ds_load_b128 v[176:179], v160 offset:11424
	v_fma_f64 v[80:81], v[148:149], v[82:83], -v[180:181]
	v_fma_f64 v[82:83], v[150:151], v[82:83], v[84:85]
	ds_load_b128 v[148:151], v160 offset:12624
	;; [unrolled: 4-line block ×3, first 2 shown]
	v_fma_f64 v[88:89], v[156:157], v[90:91], -v[184:185]
	v_fma_f64 v[90:91], v[158:159], v[90:91], v[92:93]
	v_fma_f64 v[92:93], v[164:165], v[94:95], -v[186:187]
	v_fma_f64 v[94:95], v[166:167], v[94:95], v[96:97]
	;; [unrolled: 2-line block ×3, first 2 shown]
	s_waitcnt vmcnt(5) lgkmcnt(5)
	v_mul_f64 v[130:131], v[128:129], v[104:105]
	v_mul_f64 v[104:105], v[126:127], v[104:105]
	s_waitcnt vmcnt(4) lgkmcnt(4)
	v_mul_f64 v[161:162], v[146:147], v[108:109]
	v_mul_f64 v[108:109], v[144:145], v[108:109]
	;; [unrolled: 3-line block ×6, first 2 shown]
	v_fma_f64 v[100:101], v[126:127], v[102:103], -v[130:131]
	v_fma_f64 v[102:103], v[128:129], v[102:103], v[104:105]
	v_fma_f64 v[104:105], v[144:145], v[106:107], -v[161:162]
	v_fma_f64 v[106:107], v[146:147], v[106:107], v[108:109]
	;; [unrolled: 2-line block ×6, first 2 shown]
	ds_store_b128 v160, v[72:75] offset:624
	ds_store_b128 v160, v[76:79] offset:1824
	;; [unrolled: 1-line block ×13, first 2 shown]
.LBB0_13:
	s_or_b32 exec_lo, exec_lo, s2
	s_waitcnt lgkmcnt(0)
	s_barrier
	buffer_gl0_inv
	ds_load_b128 v[72:75], v160
	ds_load_b128 v[80:83], v160 offset:1200
	ds_load_b128 v[84:87], v160 offset:2400
	;; [unrolled: 1-line block ×12, first 2 shown]
	s_and_saveexec_b32 s1, vcc_lo
	s_cbranch_execz .LBB0_15
; %bb.14:
	s_clause 0x1
	scratch_load_b32 v0, off, off offset:16
	scratch_load_b64 v[1:2], off, off
	s_waitcnt vmcnt(0)
	v_lshl_add_u32 v0, v1, 4, v0
	ds_load_b128 v[40:43], v160 offset:624
	ds_load_b128 v[172:175], v0 offset:1824
	;; [unrolled: 1-line block ×13, first 2 shown]
.LBB0_15:
	s_or_b32 exec_lo, exec_lo, s1
	s_waitcnt lgkmcnt(11)
	v_add_f64 v[124:125], v[72:73], v[80:81]
	v_add_f64 v[126:127], v[74:75], v[82:83]
	s_waitcnt lgkmcnt(5)
	v_add_f64 v[128:129], v[122:123], v[118:119]
	v_add_f64 v[130:131], v[120:121], v[116:117]
	v_add_f64 v[148:149], v[120:121], -v[116:117]
	s_waitcnt lgkmcnt(4)
	v_add_f64 v[150:151], v[108:109], -v[112:113]
	s_waitcnt lgkmcnt(3)
	;; [unrolled: 2-line block ×3, first 2 shown]
	v_add_f64 v[154:155], v[84:85], v[92:93]
	v_add_f64 v[156:157], v[84:85], -v[92:93]
	s_mov_b32 s44, 0x4267c47c
	s_mov_b32 s34, 0x42a4c3d2
	;; [unrolled: 1-line block ×29, first 2 shown]
	v_add_f64 v[124:125], v[124:125], v[84:85]
	v_add_f64 v[126:127], v[126:127], v[86:87]
	s_mov_b32 s30, s36
	s_mov_b32 s42, s12
	;; [unrolled: 1-line block ×4, first 2 shown]
	v_mul_f64 v[212:213], v[128:129], s[2:3]
	v_mul_f64 v[230:231], v[128:129], s[18:19]
	;; [unrolled: 1-line block ×3, first 2 shown]
	s_waitcnt lgkmcnt(0)
	s_barrier
	buffer_gl0_inv
	v_add_f64 v[124:125], v[124:125], v[88:89]
	v_add_f64 v[126:127], v[126:127], v[90:91]
	s_delay_alu instid0(VALU_DEP_2) | instskip(NEXT) | instid1(VALU_DEP_2)
	v_add_f64 v[124:125], v[124:125], v[100:101]
	v_add_f64 v[126:127], v[126:127], v[102:103]
	s_delay_alu instid0(VALU_DEP_2) | instskip(NEXT) | instid1(VALU_DEP_2)
	;; [unrolled: 3-line block ×3, first 2 shown]
	v_add_f64 v[124:125], v[124:125], v[120:121]
	v_add_f64 v[126:127], v[126:127], v[122:123]
	v_add_f64 v[122:123], v[122:123], -v[118:119]
	v_add_f64 v[120:121], v[110:111], v[114:115]
	s_delay_alu instid0(VALU_DEP_4) | instskip(NEXT) | instid1(VALU_DEP_4)
	v_add_f64 v[116:117], v[124:125], v[116:117]
	v_add_f64 v[118:119], v[126:127], v[118:119]
	;; [unrolled: 1-line block ×3, first 2 shown]
	v_add_f64 v[108:109], v[110:111], -v[114:115]
	v_add_f64 v[124:125], v[86:87], -v[94:95]
	v_mul_f64 v[208:209], v[120:121], s[22:23]
	v_mul_f64 v[210:211], v[122:123], s[26:27]
	;; [unrolled: 1-line block ×8, first 2 shown]
	v_add_f64 v[110:111], v[116:117], v[112:113]
	v_add_f64 v[112:113], v[118:119], v[114:115]
	;; [unrolled: 1-line block ×4, first 2 shown]
	v_add_f64 v[118:119], v[102:103], -v[106:107]
	v_mul_f64 v[206:207], v[108:109], s[30:31]
	v_mul_f64 v[214:215], v[124:125], s[24:25]
	;; [unrolled: 1-line block ×5, first 2 shown]
	v_fma_f64 v[6:7], v[130:131], s[20:21], v[4:5]
	v_fma_f64 v[4:5], v[130:131], s[20:21], -v[4:5]
	v_add_f64 v[100:101], v[110:111], v[104:105]
	v_add_f64 v[102:103], v[112:113], v[106:107]
	;; [unrolled: 1-line block ×4, first 2 shown]
	v_add_f64 v[88:89], v[88:89], -v[96:97]
	v_add_f64 v[90:91], v[90:91], -v[98:99]
	v_add_f64 v[112:113], v[86:87], v[94:95]
	v_mul_f64 v[204:205], v[116:117], s[18:19]
	v_mul_f64 v[220:221], v[118:119], s[26:27]
	;; [unrolled: 1-line block ×5, first 2 shown]
	v_add_f64 v[96:97], v[100:101], v[96:97]
	v_add_f64 v[98:99], v[102:103], v[98:99]
	v_mul_f64 v[218:219], v[106:107], s[20:21]
	v_mul_f64 v[232:233], v[106:107], s[2:3]
	;; [unrolled: 1-line block ×3, first 2 shown]
	v_add_f64 v[84:85], v[96:97], v[92:93]
	v_add_f64 v[86:87], v[98:99], v[94:95]
	v_add_f64 v[92:93], v[82:83], -v[78:79]
	v_add_f64 v[94:95], v[80:81], v[76:77]
	v_add_f64 v[82:83], v[82:83], v[78:79]
	v_add_f64 v[80:81], v[80:81], -v[76:77]
	v_add_f64 v[76:77], v[84:85], v[76:77]
	v_add_f64 v[78:79], v[86:87], v[78:79]
	v_mul_f64 v[84:85], v[92:93], s[44:45]
	v_mul_f64 v[86:87], v[92:93], s[34:35]
	;; [unrolled: 1-line block ×10, first 2 shown]
	ds_store_b128 v163, v[76:79]
	v_fma_f64 v[102:103], v[94:95], s[2:3], v[84:85]
	v_fma_f64 v[84:85], v[94:95], s[2:3], -v[84:85]
	v_fma_f64 v[104:105], v[94:95], s[16:17], v[86:87]
	v_fma_f64 v[86:87], v[94:95], s[16:17], -v[86:87]
	;; [unrolled: 2-line block ×6, first 2 shown]
	v_mul_f64 v[94:95], v[82:83], s[2:3]
	v_mul_f64 v[82:83], v[82:83], s[14:15]
	v_fma_f64 v[178:179], v[80:81], s[28:29], v[164:165]
	v_fma_f64 v[164:165], v[80:81], s[34:35], v[164:165]
	;; [unrolled: 1-line block ×8, first 2 shown]
	v_add_f64 v[76:77], v[140:141], v[52:53]
	v_add_f64 v[84:85], v[72:73], v[84:85]
	;; [unrolled: 1-line block ×10, first 2 shown]
	v_fma_f64 v[176:177], v[80:81], s[26:27], v[94:95]
	v_fma_f64 v[94:95], v[80:81], s[44:45], v[94:95]
	v_fma_f64 v[186:187], v[80:81], s[38:39], v[82:83]
	v_fma_f64 v[80:81], v[80:81], s[24:25], v[82:83]
	v_add_f64 v[82:83], v[72:73], v[102:103]
	v_add_f64 v[188:189], v[74:75], v[164:165]
	v_add_f64 v[164:165], v[74:75], v[180:181]
	v_add_f64 v[180:181], v[72:73], v[96:97]
	v_add_f64 v[166:167], v[74:75], v[166:167]
	v_add_f64 v[182:183], v[74:75], v[182:183]
	v_add_f64 v[168:169], v[74:75], v[168:169]
	v_add_f64 v[184:185], v[74:75], v[184:185]
	v_add_f64 v[170:171], v[74:75], v[170:171]
	v_add_f64 v[102:103], v[74:75], v[176:177]
	v_add_f64 v[176:177], v[74:75], v[178:179]
	v_add_f64 v[178:179], v[72:73], v[86:87]
	v_add_f64 v[194:195], v[74:75], v[80:81]
	v_mul_f64 v[80:81], v[124:125], s[34:35]
	v_mul_f64 v[86:87], v[90:91], s[36:37]
	v_add_f64 v[94:95], v[74:75], v[94:95]
	v_add_f64 v[186:187], v[74:75], v[186:187]
	s_delay_alu instid0(VALU_DEP_4) | instskip(NEXT) | instid1(VALU_DEP_4)
	v_fma_f64 v[72:73], v[154:155], s[16:17], v[80:81]
	v_fma_f64 v[96:97], v[110:111], s[22:23], v[86:87]
	v_fma_f64 v[80:81], v[154:155], s[16:17], -v[80:81]
	s_delay_alu instid0(VALU_DEP_3) | instskip(SKIP_1) | instid1(VALU_DEP_3)
	v_add_f64 v[72:73], v[72:73], v[82:83]
	v_mul_f64 v[82:83], v[112:113], s[16:17]
	v_add_f64 v[80:81], v[80:81], v[84:85]
	v_fma_f64 v[84:85], v[110:111], s[22:23], -v[86:87]
	s_delay_alu instid0(VALU_DEP_4) | instskip(NEXT) | instid1(VALU_DEP_4)
	v_add_f64 v[72:73], v[96:97], v[72:73]
	v_fma_f64 v[74:75], v[156:157], s[28:29], v[82:83]
	v_mul_f64 v[96:97], v[106:107], s[22:23]
	v_fma_f64 v[82:83], v[156:157], s[34:35], v[82:83]
	v_add_f64 v[80:81], v[84:85], v[80:81]
	s_delay_alu instid0(VALU_DEP_4) | instskip(NEXT) | instid1(VALU_DEP_4)
	v_add_f64 v[74:75], v[74:75], v[102:103]
	v_fma_f64 v[98:99], v[88:89], s[30:31], v[96:97]
	s_delay_alu instid0(VALU_DEP_4) | instskip(SKIP_2) | instid1(VALU_DEP_4)
	v_add_f64 v[82:83], v[82:83], v[94:95]
	v_fma_f64 v[84:85], v[88:89], s[36:37], v[96:97]
	v_fma_f64 v[96:97], v[156:157], s[38:39], v[216:217]
	v_add_f64 v[74:75], v[98:99], v[74:75]
	v_mul_f64 v[98:99], v[118:119], s[12:13]
	s_delay_alu instid0(VALU_DEP_4) | instskip(NEXT) | instid1(VALU_DEP_4)
	v_add_f64 v[82:83], v[84:85], v[82:83]
	v_add_f64 v[96:97], v[96:97], v[164:165]
	v_mul_f64 v[164:165], v[90:91], s[42:43]
	s_delay_alu instid0(VALU_DEP_4) | instskip(SKIP_1) | instid1(VALU_DEP_3)
	v_fma_f64 v[100:101], v[114:115], s[20:21], v[98:99]
	v_fma_f64 v[84:85], v[114:115], s[20:21], -v[98:99]
	v_fma_f64 v[98:99], v[110:111], s[20:21], v[164:165]
	s_delay_alu instid0(VALU_DEP_3) | instskip(SKIP_1) | instid1(VALU_DEP_4)
	v_add_f64 v[72:73], v[100:101], v[72:73]
	v_mul_f64 v[100:101], v[116:117], s[20:21]
	v_add_f64 v[80:81], v[84:85], v[80:81]
	s_delay_alu instid0(VALU_DEP_2) | instskip(SKIP_1) | instid1(VALU_DEP_2)
	v_fma_f64 v[102:103], v[152:153], s[42:43], v[100:101]
	v_fma_f64 v[84:85], v[152:153], s[12:13], v[100:101]
	v_add_f64 v[74:75], v[102:103], v[74:75]
	v_mul_f64 v[102:103], v[108:109], s[8:9]
	s_delay_alu instid0(VALU_DEP_3) | instskip(NEXT) | instid1(VALU_DEP_2)
	v_add_f64 v[82:83], v[84:85], v[82:83]
	v_fma_f64 v[196:197], v[126:127], s[18:19], v[102:103]
	v_fma_f64 v[84:85], v[126:127], s[18:19], -v[102:103]
	s_delay_alu instid0(VALU_DEP_2) | instskip(SKIP_1) | instid1(VALU_DEP_3)
	v_add_f64 v[72:73], v[196:197], v[72:73]
	v_mul_f64 v[196:197], v[120:121], s[18:19]
	v_add_f64 v[80:81], v[84:85], v[80:81]
	v_mul_f64 v[120:121], v[120:121], s[20:21]
	s_delay_alu instid0(VALU_DEP_3) | instskip(SKIP_2) | instid1(VALU_DEP_3)
	v_fma_f64 v[198:199], v[150:151], s[40:41], v[196:197]
	v_fma_f64 v[84:85], v[150:151], s[8:9], v[196:197]
	v_mul_f64 v[196:197], v[124:125], s[12:13]
	v_add_f64 v[74:75], v[198:199], v[74:75]
	v_mul_f64 v[198:199], v[122:123], s[24:25]
	s_delay_alu instid0(VALU_DEP_4) | instskip(SKIP_1) | instid1(VALU_DEP_3)
	v_add_f64 v[82:83], v[84:85], v[82:83]
	v_mul_f64 v[122:123], v[122:123], s[30:31]
	v_fma_f64 v[200:201], v[130:131], s[14:15], v[198:199]
	v_fma_f64 v[84:85], v[130:131], s[14:15], -v[198:199]
	v_mul_f64 v[198:199], v[112:113], s[20:21]
	s_delay_alu instid0(VALU_DEP_3) | instskip(SKIP_1) | instid1(VALU_DEP_4)
	v_add_f64 v[72:73], v[200:201], v[72:73]
	v_mul_f64 v[200:201], v[128:129], s[14:15]
	v_add_f64 v[80:81], v[84:85], v[80:81]
	v_fma_f64 v[84:85], v[154:155], s[20:21], v[196:197]
	s_delay_alu instid0(VALU_DEP_3) | instskip(SKIP_1) | instid1(VALU_DEP_3)
	v_fma_f64 v[86:87], v[148:149], s[24:25], v[200:201]
	v_fma_f64 v[202:203], v[148:149], s[38:39], v[200:201]
	v_add_f64 v[84:85], v[84:85], v[104:105]
	v_mul_f64 v[200:201], v[106:107], s[14:15]
	s_delay_alu instid0(VALU_DEP_4)
	v_add_f64 v[82:83], v[86:87], v[82:83]
	v_fma_f64 v[86:87], v[156:157], s[42:43], v[198:199]
	v_add_f64 v[74:75], v[202:203], v[74:75]
	v_mul_f64 v[202:203], v[118:119], s[40:41]
	ds_store_b128 v163, v[80:83] offset:192
	v_add_f64 v[86:87], v[86:87], v[176:177]
	v_mul_f64 v[176:177], v[90:91], s[24:25]
	v_add_f64 v[80:81], v[142:143], -v[54:55]
	ds_store_b128 v163, v[72:75] offset:16
	v_fma_f64 v[94:95], v[110:111], s[14:15], v[176:177]
	v_mul_f64 v[78:79], v[80:81], s[24:25]
	s_delay_alu instid0(VALU_DEP_2) | instskip(SKIP_1) | instid1(VALU_DEP_1)
	v_add_f64 v[84:85], v[94:95], v[84:85]
	v_fma_f64 v[94:95], v[88:89], s[38:39], v[200:201]
	v_add_f64 v[86:87], v[94:95], v[86:87]
	v_fma_f64 v[94:95], v[114:115], s[18:19], v[202:203]
	s_delay_alu instid0(VALU_DEP_1) | instskip(SKIP_1) | instid1(VALU_DEP_1)
	v_add_f64 v[84:85], v[94:95], v[84:85]
	v_fma_f64 v[94:95], v[152:153], s[8:9], v[204:205]
	v_add_f64 v[86:87], v[94:95], v[86:87]
	v_fma_f64 v[94:95], v[126:127], s[22:23], v[206:207]
	s_delay_alu instid0(VALU_DEP_1) | instskip(SKIP_1) | instid1(VALU_DEP_1)
	;; [unrolled: 5-line block ×3, first 2 shown]
	v_add_f64 v[84:85], v[94:95], v[84:85]
	v_fma_f64 v[94:95], v[148:149], s[44:45], v[212:213]
	v_add_f64 v[86:87], v[94:95], v[86:87]
	v_fma_f64 v[94:95], v[154:155], s[14:15], v[214:215]
	s_delay_alu instid0(VALU_DEP_1) | instskip(SKIP_1) | instid1(VALU_DEP_2)
	v_add_f64 v[94:95], v[94:95], v[144:145]
	v_mul_f64 v[144:145], v[124:125], s[40:41]
	v_add_f64 v[94:95], v[98:99], v[94:95]
	v_fma_f64 v[98:99], v[88:89], s[12:13], v[218:219]
	s_delay_alu instid0(VALU_DEP_1) | instskip(SKIP_1) | instid1(VALU_DEP_1)
	v_add_f64 v[96:97], v[98:99], v[96:97]
	v_fma_f64 v[98:99], v[114:115], s[2:3], v[220:221]
	v_add_f64 v[94:95], v[98:99], v[94:95]
	v_fma_f64 v[98:99], v[152:153], s[44:45], v[222:223]
	s_delay_alu instid0(VALU_DEP_1) | instskip(SKIP_1) | instid1(VALU_DEP_1)
	v_add_f64 v[96:97], v[98:99], v[96:97]
	v_fma_f64 v[98:99], v[126:127], s[16:17], v[224:225]
	;; [unrolled: 5-line block ×3, first 2 shown]
	v_add_f64 v[94:95], v[98:99], v[94:95]
	v_fma_f64 v[98:99], v[148:149], s[40:41], v[230:231]
	s_delay_alu instid0(VALU_DEP_1)
	v_add_f64 v[96:97], v[98:99], v[96:97]
	v_fma_f64 v[98:99], v[154:155], s[18:19], v[144:145]
	ds_store_b128 v163, v[84:87] offset:32
	v_add_f64 v[86:87], v[142:143], v[54:55]
	v_add_f64 v[84:85], v[140:141], -v[52:53]
	ds_store_b128 v163, v[94:97] offset:48
	v_add_f64 v[98:99], v[98:99], v[146:147]
	v_mul_f64 v[146:147], v[112:113], s[18:19]
	v_add_f64 v[94:95], v[56:57], v[136:137]
	v_mul_f64 v[82:83], v[86:87], s[14:15]
	s_delay_alu instid0(VALU_DEP_3) | instskip(NEXT) | instid1(VALU_DEP_1)
	v_fma_f64 v[100:101], v[156:157], s[8:9], v[146:147]
	v_add_f64 v[100:101], v[100:101], v[182:183]
	v_mul_f64 v[182:183], v[90:91], s[26:27]
	s_delay_alu instid0(VALU_DEP_1) | instskip(NEXT) | instid1(VALU_DEP_1)
	v_fma_f64 v[102:103], v[110:111], s[2:3], v[182:183]
	v_add_f64 v[98:99], v[102:103], v[98:99]
	v_fma_f64 v[102:103], v[88:89], s[44:45], v[232:233]
	s_delay_alu instid0(VALU_DEP_1) | instskip(SKIP_1) | instid1(VALU_DEP_1)
	v_add_f64 v[100:101], v[102:103], v[100:101]
	v_fma_f64 v[102:103], v[114:115], s[22:23], v[234:235]
	v_add_f64 v[98:99], v[102:103], v[98:99]
	v_fma_f64 v[102:103], v[152:153], s[30:31], v[236:237]
	s_delay_alu instid0(VALU_DEP_1) | instskip(SKIP_1) | instid1(VALU_DEP_1)
	v_add_f64 v[100:101], v[102:103], v[100:101]
	;; [unrolled: 5-line block ×4, first 2 shown]
	v_fma_f64 v[102:103], v[154:155], s[22:23], v[246:247]
	v_add_f64 v[102:103], v[102:103], v[158:159]
	v_mul_f64 v[158:159], v[112:113], s[22:23]
	v_mul_f64 v[112:113], v[112:113], s[2:3]
	s_delay_alu instid0(VALU_DEP_2) | instskip(NEXT) | instid1(VALU_DEP_1)
	v_fma_f64 v[104:105], v[156:157], s[36:37], v[158:159]
	v_add_f64 v[104:105], v[104:105], v[184:185]
	v_mul_f64 v[184:185], v[90:91], s[34:35]
	v_mul_f64 v[90:91], v[90:91], s[8:9]
	s_delay_alu instid0(VALU_DEP_2) | instskip(NEXT) | instid1(VALU_DEP_1)
	v_fma_f64 v[248:249], v[110:111], s[16:17], v[184:185]
	v_add_f64 v[102:103], v[248:249], v[102:103]
	v_mul_f64 v[248:249], v[106:107], s[16:17]
	s_delay_alu instid0(VALU_DEP_1) | instskip(NEXT) | instid1(VALU_DEP_1)
	v_fma_f64 v[250:251], v[88:89], s[28:29], v[248:249]
	v_add_f64 v[104:105], v[250:251], v[104:105]
	v_mul_f64 v[250:251], v[118:119], s[38:39]
	v_mul_f64 v[118:119], v[118:119], s[28:29]
	s_delay_alu instid0(VALU_DEP_2) | instskip(NEXT) | instid1(VALU_DEP_1)
	v_fma_f64 v[252:253], v[114:115], s[14:15], v[250:251]
	v_add_f64 v[102:103], v[252:253], v[102:103]
	v_mul_f64 v[252:253], v[116:117], s[14:15]
	v_mul_f64 v[116:117], v[116:117], s[16:17]
	s_delay_alu instid0(VALU_DEP_2) | instskip(NEXT) | instid1(VALU_DEP_1)
	v_fma_f64 v[254:255], v[152:153], s[24:25], v[252:253]
	v_add_f64 v[104:105], v[254:255], v[104:105]
	v_mul_f64 v[254:255], v[108:109], s[26:27]
	s_delay_alu instid0(VALU_DEP_1) | instskip(NEXT) | instid1(VALU_DEP_1)
	v_fma_f64 v[0:1], v[126:127], s[2:3], v[254:255]
	v_add_f64 v[0:1], v[0:1], v[102:103]
	v_fma_f64 v[102:103], v[150:151], s[44:45], v[2:3]
	v_fma_f64 v[2:3], v[150:151], s[26:27], v[2:3]
	s_delay_alu instid0(VALU_DEP_2) | instskip(NEXT) | instid1(VALU_DEP_4)
	v_add_f64 v[104:105], v[102:103], v[104:105]
	v_add_f64 v[102:103], v[6:7], v[0:1]
	v_mul_f64 v[0:1], v[128:129], s[20:21]
	v_mul_f64 v[128:129], v[128:129], s[22:23]
	s_delay_alu instid0(VALU_DEP_2) | instskip(SKIP_1) | instid1(VALU_DEP_2)
	v_fma_f64 v[6:7], v[148:149], s[42:43], v[0:1]
	v_fma_f64 v[0:1], v[148:149], s[12:13], v[0:1]
	v_add_f64 v[104:105], v[6:7], v[104:105]
	v_mul_f64 v[6:7], v[124:125], s[26:27]
	ds_store_b128 v163, v[98:101] offset:64
	v_add_f64 v[98:99], v[70:71], -v[50:51]
	v_add_f64 v[100:101], v[58:59], -v[138:139]
	ds_store_b128 v163, v[102:105] offset:80
	v_fma_f64 v[124:125], v[154:155], s[2:3], v[6:7]
	v_fma_f64 v[6:7], v[154:155], s[2:3], -v[6:7]
	v_add_f64 v[102:103], v[68:69], v[48:49]
	v_mul_f64 v[104:105], v[98:99], s[12:13]
	v_mul_f64 v[96:97], v[100:101], s[8:9]
	v_add_f64 v[124:125], v[124:125], v[161:162]
	v_fma_f64 v[161:162], v[156:157], s[44:45], v[112:113]
	v_add_f64 v[6:7], v[6:7], v[92:93]
	v_fma_f64 v[92:93], v[156:157], s[26:27], v[112:113]
	v_fma_f64 v[112:113], v[148:149], s[30:31], v[128:129]
	s_delay_alu instid0(VALU_DEP_4) | instskip(SKIP_3) | instid1(VALU_DEP_3)
	v_add_f64 v[161:162], v[161:162], v[186:187]
	v_fma_f64 v[186:187], v[110:111], s[18:19], v[90:91]
	v_fma_f64 v[90:91], v[110:111], s[18:19], -v[90:91]
	v_add_f64 v[92:93], v[92:93], v[194:195]
	v_add_f64 v[124:125], v[186:187], v[124:125]
	v_mul_f64 v[186:187], v[106:107], s[18:19]
	s_delay_alu instid0(VALU_DEP_4) | instskip(NEXT) | instid1(VALU_DEP_2)
	v_add_f64 v[6:7], v[90:91], v[6:7]
	v_fma_f64 v[106:107], v[88:89], s[40:41], v[186:187]
	v_fma_f64 v[90:91], v[88:89], s[8:9], v[186:187]
	s_delay_alu instid0(VALU_DEP_2) | instskip(SKIP_1) | instid1(VALU_DEP_3)
	v_add_f64 v[106:107], v[106:107], v[161:162]
	v_fma_f64 v[161:162], v[114:115], s[16:17], v[118:119]
	v_add_f64 v[90:91], v[90:91], v[92:93]
	v_fma_f64 v[92:93], v[114:115], s[16:17], -v[118:119]
	s_delay_alu instid0(VALU_DEP_3) | instskip(SKIP_1) | instid1(VALU_DEP_3)
	v_add_f64 v[124:125], v[161:162], v[124:125]
	v_fma_f64 v[161:162], v[152:153], s[34:35], v[116:117]
	v_add_f64 v[6:7], v[92:93], v[6:7]
	v_fma_f64 v[92:93], v[152:153], s[28:29], v[116:117]
	v_add_f64 v[116:117], v[66:67], v[38:39]
	s_delay_alu instid0(VALU_DEP_4) | instskip(SKIP_1) | instid1(VALU_DEP_4)
	v_add_f64 v[106:107], v[161:162], v[106:107]
	v_mul_f64 v[161:162], v[108:109], s[12:13]
	v_add_f64 v[90:91], v[92:93], v[90:91]
	s_delay_alu instid0(VALU_DEP_2) | instskip(SKIP_1) | instid1(VALU_DEP_2)
	v_fma_f64 v[92:93], v[126:127], s[20:21], -v[161:162]
	v_fma_f64 v[108:109], v[126:127], s[20:21], v[161:162]
	v_add_f64 v[6:7], v[92:93], v[6:7]
	v_fma_f64 v[92:93], v[150:151], s[12:13], v[120:121]
	s_delay_alu instid0(VALU_DEP_3) | instskip(SKIP_1) | instid1(VALU_DEP_3)
	v_add_f64 v[108:109], v[108:109], v[124:125]
	v_fma_f64 v[124:125], v[150:151], s[42:43], v[120:121]
	v_add_f64 v[90:91], v[92:93], v[90:91]
	v_fma_f64 v[92:93], v[130:131], s[22:23], -v[122:123]
	s_delay_alu instid0(VALU_DEP_3) | instskip(SKIP_1) | instid1(VALU_DEP_4)
	v_add_f64 v[124:125], v[124:125], v[106:107]
	v_fma_f64 v[106:107], v[130:131], s[22:23], v[122:123]
	v_add_f64 v[120:121], v[112:113], v[90:91]
	s_delay_alu instid0(VALU_DEP_4)
	v_add_f64 v[118:119], v[92:93], v[6:7]
	v_fma_f64 v[6:7], v[154:155], s[22:23], -v[246:247]
	v_fma_f64 v[90:91], v[156:157], s[30:31], v[158:159]
	v_fma_f64 v[92:93], v[110:111], s[16:17], -v[184:185]
	v_add_f64 v[106:107], v[106:107], v[108:109]
	v_fma_f64 v[108:109], v[148:149], s[36:37], v[128:129]
	v_add_f64 v[112:113], v[62:63], -v[46:47]
	v_mul_f64 v[128:129], v[116:117], s[16:17]
	ds_store_b128 v163, v[118:121] offset:112
	v_add_f64 v[6:7], v[6:7], v[192:193]
	v_add_f64 v[90:91], v[90:91], v[170:171]
	v_add_f64 v[120:121], v[60:61], v[44:45]
	v_add_f64 v[118:119], v[68:69], -v[48:49]
	v_add_f64 v[108:109], v[108:109], v[124:125]
	v_add_f64 v[6:7], v[92:93], v[6:7]
	v_fma_f64 v[92:93], v[88:89], s[34:35], v[248:249]
	ds_store_b128 v163, v[106:109] offset:96
	v_add_f64 v[106:107], v[58:59], v[138:139]
	v_add_f64 v[108:109], v[56:57], -v[136:137]
	v_add_f64 v[90:91], v[92:93], v[90:91]
	v_fma_f64 v[92:93], v[114:115], s[14:15], -v[250:251]
	s_delay_alu instid0(VALU_DEP_1) | instskip(SKIP_1) | instid1(VALU_DEP_1)
	v_add_f64 v[6:7], v[92:93], v[6:7]
	v_fma_f64 v[92:93], v[152:153], s[38:39], v[252:253]
	v_add_f64 v[90:91], v[92:93], v[90:91]
	v_fma_f64 v[92:93], v[126:127], s[2:3], -v[254:255]
	s_delay_alu instid0(VALU_DEP_2) | instskip(NEXT) | instid1(VALU_DEP_2)
	v_add_f64 v[2:3], v[2:3], v[90:91]
	v_add_f64 v[6:7], v[92:93], v[6:7]
	v_fma_f64 v[90:91], v[152:153], s[40:41], v[204:205]
	v_add_f64 v[92:93], v[66:67], -v[38:39]
	s_delay_alu instid0(VALU_DEP_4)
	v_add_f64 v[124:125], v[0:1], v[2:3]
	v_fma_f64 v[0:1], v[154:155], s[18:19], -v[144:145]
	v_add_f64 v[122:123], v[4:5], v[6:7]
	v_fma_f64 v[2:3], v[156:157], s[40:41], v[146:147]
	v_fma_f64 v[4:5], v[110:111], s[2:3], -v[182:183]
	v_fma_f64 v[6:7], v[148:149], s[28:29], v[244:245]
	v_add_f64 v[0:1], v[0:1], v[190:191]
	s_delay_alu instid0(VALU_DEP_4) | instskip(NEXT) | instid1(VALU_DEP_2)
	v_add_f64 v[2:3], v[2:3], v[168:169]
	v_add_f64 v[0:1], v[4:5], v[0:1]
	v_fma_f64 v[4:5], v[88:89], s[26:27], v[232:233]
	s_delay_alu instid0(VALU_DEP_1) | instskip(SKIP_1) | instid1(VALU_DEP_1)
	v_add_f64 v[2:3], v[4:5], v[2:3]
	v_fma_f64 v[4:5], v[114:115], s[22:23], -v[234:235]
	v_add_f64 v[0:1], v[4:5], v[0:1]
	v_fma_f64 v[4:5], v[152:153], s[36:37], v[236:237]
	s_delay_alu instid0(VALU_DEP_1) | instskip(SKIP_1) | instid1(VALU_DEP_1)
	v_add_f64 v[2:3], v[4:5], v[2:3]
	v_fma_f64 v[4:5], v[126:127], s[14:15], -v[238:239]
	v_add_f64 v[0:1], v[4:5], v[0:1]
	v_fma_f64 v[4:5], v[150:151], s[38:39], v[240:241]
	s_delay_alu instid0(VALU_DEP_1) | instskip(SKIP_1) | instid1(VALU_DEP_2)
	v_add_f64 v[2:3], v[4:5], v[2:3]
	v_fma_f64 v[4:5], v[130:131], s[16:17], -v[242:243]
	v_add_f64 v[146:147], v[6:7], v[2:3]
	s_delay_alu instid0(VALU_DEP_2)
	v_add_f64 v[144:145], v[4:5], v[0:1]
	v_fma_f64 v[0:1], v[154:155], s[14:15], -v[214:215]
	v_fma_f64 v[2:3], v[156:157], s[24:25], v[216:217]
	v_fma_f64 v[4:5], v[110:111], s[20:21], -v[164:165]
	v_fma_f64 v[6:7], v[148:149], s[8:9], v[230:231]
	ds_store_b128 v163, v[122:125] offset:128
	v_mul_f64 v[122:123], v[112:113], s[36:37]
	ds_store_b128 v163, v[144:147] offset:144
	v_add_f64 v[0:1], v[0:1], v[180:181]
	v_add_f64 v[2:3], v[2:3], v[166:167]
	v_add_f64 v[144:145], v[60:61], -v[44:45]
	s_delay_alu instid0(VALU_DEP_3) | instskip(SKIP_1) | instid1(VALU_DEP_1)
	v_add_f64 v[0:1], v[4:5], v[0:1]
	v_fma_f64 v[4:5], v[88:89], s[42:43], v[218:219]
	v_add_f64 v[2:3], v[4:5], v[2:3]
	v_fma_f64 v[4:5], v[114:115], s[2:3], -v[220:221]
	s_delay_alu instid0(VALU_DEP_1) | instskip(SKIP_1) | instid1(VALU_DEP_1)
	v_add_f64 v[0:1], v[4:5], v[0:1]
	v_fma_f64 v[4:5], v[152:153], s[26:27], v[222:223]
	v_add_f64 v[2:3], v[4:5], v[2:3]
	v_fma_f64 v[4:5], v[126:127], s[16:17], -v[224:225]
	s_delay_alu instid0(VALU_DEP_1) | instskip(SKIP_1) | instid1(VALU_DEP_1)
	v_add_f64 v[0:1], v[4:5], v[0:1]
	v_fma_f64 v[4:5], v[150:151], s[34:35], v[226:227]
	v_add_f64 v[2:3], v[4:5], v[2:3]
	v_fma_f64 v[4:5], v[130:131], s[18:19], -v[228:229]
	s_delay_alu instid0(VALU_DEP_2) | instskip(NEXT) | instid1(VALU_DEP_2)
	v_add_f64 v[166:167], v[6:7], v[2:3]
	v_add_f64 v[164:165], v[4:5], v[0:1]
	v_fma_f64 v[0:1], v[154:155], s[20:21], -v[196:197]
	v_fma_f64 v[2:3], v[156:157], s[12:13], v[198:199]
	v_fma_f64 v[4:5], v[110:111], s[14:15], -v[176:177]
	v_fma_f64 v[6:7], v[88:89], s[24:25], v[200:201]
	v_fma_f64 v[88:89], v[114:115], s[18:19], -v[202:203]
	v_add_f64 v[154:155], v[174:175], v[34:35]
	v_add_f64 v[156:157], v[172:173], -v[32:33]
	v_add_f64 v[114:115], v[70:71], v[50:51]
	v_mul_f64 v[110:111], v[106:107], s[18:19]
	v_add_f64 v[0:1], v[0:1], v[178:179]
	v_add_f64 v[2:3], v[2:3], v[188:189]
	v_mul_f64 v[158:159], v[154:155], s[2:3]
	v_mul_f64 v[124:125], v[114:115], s[20:21]
	s_delay_alu instid0(VALU_DEP_4) | instskip(NEXT) | instid1(VALU_DEP_4)
	v_add_f64 v[0:1], v[4:5], v[0:1]
	v_add_f64 v[2:3], v[6:7], v[2:3]
	v_fma_f64 v[4:5], v[126:127], s[22:23], -v[206:207]
	v_fma_f64 v[6:7], v[150:151], s[30:31], v[208:209]
	v_add_f64 v[150:151], v[174:175], -v[34:35]
	v_add_f64 v[126:127], v[64:65], -v[36:37]
	v_add_f64 v[0:1], v[88:89], v[0:1]
	v_add_f64 v[2:3], v[90:91], v[2:3]
	;; [unrolled: 1-line block ×3, first 2 shown]
	v_mul_f64 v[90:91], v[92:93], s[34:35]
	v_mul_f64 v[152:153], v[150:151], s[44:45]
	v_add_f64 v[0:1], v[4:5], v[0:1]
	v_add_f64 v[2:3], v[6:7], v[2:3]
	v_fma_f64 v[4:5], v[130:131], s[2:3], -v[210:211]
	v_fma_f64 v[6:7], v[148:149], s[26:27], v[212:213]
	v_add_f64 v[148:149], v[172:173], v[32:33]
	v_add_f64 v[130:131], v[62:63], v[46:47]
	s_delay_alu instid0(VALU_DEP_4) | instskip(NEXT) | instid1(VALU_DEP_4)
	v_add_f64 v[168:169], v[4:5], v[0:1]
	v_add_f64 v[170:171], v[6:7], v[2:3]
	s_delay_alu instid0(VALU_DEP_4)
	v_fma_f64 v[0:1], v[148:149], s[2:3], -v[152:153]
	v_fma_f64 v[2:3], v[88:89], s[16:17], -v[90:91]
	v_fma_f64 v[4:5], v[156:157], s[44:45], v[158:159]
	v_mul_f64 v[146:147], v[130:131], s[22:23]
	v_fma_f64 v[6:7], v[120:121], s[22:23], -v[122:123]
	ds_store_b128 v163, v[164:167] offset:160
	ds_store_b128 v163, v[168:171] offset:176
	v_add_f64 v[0:1], v[40:41], v[0:1]
	s_delay_alu instid0(VALU_DEP_1) | instskip(SKIP_2) | instid1(VALU_DEP_3)
	v_add_f64 v[0:1], v[2:3], v[0:1]
	v_add_f64 v[2:3], v[42:43], v[4:5]
	v_fma_f64 v[4:5], v[126:127], s[34:35], v[128:129]
	v_add_f64 v[0:1], v[6:7], v[0:1]
	v_fma_f64 v[6:7], v[102:103], s[20:21], -v[104:105]
	s_delay_alu instid0(VALU_DEP_3) | instskip(SKIP_1) | instid1(VALU_DEP_3)
	v_add_f64 v[2:3], v[4:5], v[2:3]
	v_fma_f64 v[4:5], v[144:145], s[36:37], v[146:147]
	v_add_f64 v[0:1], v[6:7], v[0:1]
	s_delay_alu instid0(VALU_DEP_2) | instskip(SKIP_1) | instid1(VALU_DEP_1)
	v_add_f64 v[2:3], v[4:5], v[2:3]
	v_fma_f64 v[4:5], v[118:119], s[12:13], v[124:125]
	v_add_f64 v[2:3], v[4:5], v[2:3]
	v_fma_f64 v[4:5], v[94:95], s[18:19], -v[96:97]
	s_delay_alu instid0(VALU_DEP_1) | instskip(SKIP_1) | instid1(VALU_DEP_1)
	v_add_f64 v[0:1], v[4:5], v[0:1]
	v_fma_f64 v[4:5], v[108:109], s[8:9], v[110:111]
	v_add_f64 v[2:3], v[4:5], v[2:3]
	v_fma_f64 v[4:5], v[76:77], s[14:15], -v[78:79]
	s_delay_alu instid0(VALU_DEP_1) | instskip(SKIP_1) | instid1(VALU_DEP_1)
	v_add_f64 v[72:73], v[4:5], v[0:1]
	v_fma_f64 v[0:1], v[84:85], s[24:25], v[82:83]
	v_add_f64 v[74:75], v[0:1], v[2:3]
	s_and_saveexec_b32 s1, vcc_lo
	s_cbranch_execz .LBB0_17
; %bb.16:
	v_add_f64 v[0:1], v[42:43], v[174:175]
	v_add_f64 v[2:3], v[40:41], v[172:173]
	v_mul_f64 v[4:5], v[156:157], s[24:25]
	v_mul_f64 v[6:7], v[156:157], s[8:9]
	;; [unrolled: 1-line block ×22, first 2 shown]
	v_add_f64 v[0:1], v[0:1], v[66:67]
	v_add_f64 v[2:3], v[2:3], v[64:65]
	v_mul_f64 v[64:65], v[156:157], s[44:45]
	v_mul_f64 v[66:67], v[150:151], s[24:25]
	v_fma_f64 v[163:164], v[130:131], s[20:21], v[161:162]
	v_fma_f64 v[161:162], v[130:131], s[20:21], -v[161:162]
	v_fma_f64 v[167:168], v[130:131], s[14:15], v[165:166]
	v_fma_f64 v[173:174], v[116:117], s[22:23], v[171:172]
	v_fma_f64 v[171:172], v[116:117], s[22:23], -v[171:172]
	v_fma_f64 v[177:178], v[116:117], s[18:19], v[175:176]
	v_fma_f64 v[175:176], v[116:117], s[18:19], -v[175:176]
	;; [unrolled: 2-line block ×7, first 2 shown]
	v_fma_f64 v[203:204], v[88:89], s[14:15], v[203:204]
	v_fma_f64 v[219:220], v[114:115], s[14:15], v[217:218]
	v_fma_f64 v[217:218], v[114:115], s[14:15], -v[217:218]
	v_fma_f64 v[223:224], v[114:115], s[22:23], v[221:222]
	v_fma_f64 v[221:222], v[114:115], s[22:23], -v[221:222]
	;; [unrolled: 2-line block ×5, first 2 shown]
	v_fma_f64 v[235:236], v[102:103], s[2:3], v[235:236]
	v_fma_f64 v[8:9], v[106:107], s[14:15], v[253:254]
	v_fma_f64 v[10:11], v[106:107], s[14:15], -v[253:254]
	v_mul_f64 v[253:254], v[108:109], s[34:35]
	v_fma_f64 v[251:252], v[106:107], s[2:3], v[249:250]
	v_fma_f64 v[249:250], v[106:107], s[2:3], -v[249:250]
	v_add_f64 v[0:1], v[0:1], v[62:63]
	v_add_f64 v[2:3], v[2:3], v[60:61]
	v_mul_f64 v[60:61], v[156:157], s[34:35]
	v_add_f64 v[64:65], v[158:159], -v[64:65]
	v_fma_f64 v[28:29], v[94:95], s[16:17], -v[20:21]
	v_fma_f64 v[20:21], v[94:95], s[16:17], v[20:21]
	v_fma_f64 v[30:31], v[94:95], s[22:23], -v[22:23]
	v_fma_f64 v[22:23], v[94:95], s[22:23], v[22:23]
	v_fma_f64 v[12:13], v[106:107], s[16:17], v[253:254]
	v_fma_f64 v[14:15], v[106:107], s[16:17], -v[253:254]
	v_mul_f64 v[253:254], v[108:109], s[30:31]
	v_add_f64 v[0:1], v[0:1], v[70:71]
	v_add_f64 v[2:3], v[2:3], v[68:69]
	v_mul_f64 v[68:69], v[150:151], s[8:9]
	v_mul_f64 v[70:71], v[150:151], s[12:13]
	v_fma_f64 v[62:63], v[154:155], s[16:17], v[60:61]
	v_fma_f64 v[60:61], v[154:155], s[16:17], -v[60:61]
	v_fma_f64 v[16:17], v[106:107], s[22:23], v[253:254]
	v_add_f64 v[0:1], v[0:1], v[58:59]
	v_add_f64 v[2:3], v[2:3], v[56:57]
	v_mul_f64 v[56:57], v[156:157], s[36:37]
	v_fma_f64 v[18:19], v[106:107], s[22:23], -v[253:254]
	v_add_f64 v[62:63], v[42:43], v[62:63]
	v_add_f64 v[60:61], v[42:43], v[60:61]
	v_mul_f64 v[253:254], v[100:101], s[38:39]
	v_add_f64 v[0:1], v[0:1], v[142:143]
	v_add_f64 v[2:3], v[2:3], v[140:141]
	v_fma_f64 v[58:59], v[154:155], s[22:23], v[56:57]
	v_fma_f64 v[56:57], v[154:155], s[22:23], -v[56:57]
	v_fma_f64 v[140:141], v[148:149], s[14:15], -v[66:67]
	v_fma_f64 v[66:67], v[148:149], s[14:15], v[66:67]
	v_fma_f64 v[142:143], v[148:149], s[18:19], -v[68:69]
	v_fma_f64 v[68:69], v[148:149], s[18:19], v[68:69]
	v_add_f64 v[62:63], v[185:186], v[62:63]
	v_add_f64 v[0:1], v[0:1], v[54:55]
	;; [unrolled: 1-line block ×3, first 2 shown]
	v_mul_f64 v[52:53], v[156:157], s[12:13]
	v_add_f64 v[58:59], v[42:43], v[58:59]
	v_add_f64 v[56:57], v[42:43], v[56:57]
	;; [unrolled: 1-line block ×9, first 2 shown]
	v_mul_f64 v[136:137], v[150:151], s[36:37]
	v_mul_f64 v[138:139], v[150:151], s[34:35]
	v_fma_f64 v[54:55], v[154:155], s[20:21], v[52:53]
	v_fma_f64 v[52:53], v[154:155], s[20:21], -v[52:53]
	v_fma_f64 v[150:151], v[148:149], s[20:21], -v[70:71]
	v_fma_f64 v[70:71], v[148:149], s[20:21], v[70:71]
	v_add_f64 v[68:69], v[199:200], v[68:69]
	v_add_f64 v[56:57], v[179:180], v[56:57]
	;; [unrolled: 1-line block ×6, first 2 shown]
	v_fma_f64 v[48:49], v[154:155], s[14:15], v[4:5]
	v_fma_f64 v[4:5], v[154:155], s[14:15], -v[4:5]
	v_fma_f64 v[50:51], v[154:155], s[18:19], v[6:7]
	v_fma_f64 v[6:7], v[154:155], s[18:19], -v[6:7]
	v_fma_f64 v[154:155], v[148:149], s[22:23], -v[136:137]
	v_fma_f64 v[136:137], v[148:149], s[22:23], v[136:137]
	v_fma_f64 v[156:157], v[148:149], s[16:17], -v[138:139]
	v_fma_f64 v[138:139], v[148:149], s[16:17], v[138:139]
	v_mul_f64 v[148:149], v[148:149], s[2:3]
	v_add_f64 v[54:55], v[42:43], v[54:55]
	v_add_f64 v[52:53], v[42:43], v[52:53]
	;; [unrolled: 1-line block ×14, first 2 shown]
	v_mul_f64 v[44:45], v[144:145], s[8:9]
	v_mul_f64 v[64:65], v[144:145], s[34:35]
	v_add_f64 v[136:137], v[40:41], v[136:137]
	v_add_f64 v[148:149], v[148:149], v[152:153]
	;; [unrolled: 1-line block ×4, first 2 shown]
	v_mul_f64 v[156:157], v[144:145], s[26:27]
	v_add_f64 v[138:139], v[40:41], v[138:139]
	v_mul_f64 v[144:145], v[144:145], s[36:37]
	v_add_f64 v[52:53], v[175:176], v[52:53]
	v_add_f64 v[70:71], v[201:202], v[70:71]
	;; [unrolled: 1-line block ×9, first 2 shown]
	v_mul_f64 v[171:172], v[84:85], s[26:27]
	v_fma_f64 v[46:47], v[130:131], s[18:19], v[44:45]
	v_fma_f64 v[44:45], v[130:131], s[18:19], -v[44:45]
	v_add_f64 v[136:137], v[203:204], v[136:137]
	v_add_f64 v[40:41], v[40:41], v[148:149]
	v_fma_f64 v[148:149], v[130:131], s[16:17], v[64:65]
	v_fma_f64 v[64:65], v[130:131], s[16:17], -v[64:65]
	v_fma_f64 v[158:159], v[130:131], s[2:3], v[156:157]
	v_fma_f64 v[156:157], v[130:131], s[2:3], -v[156:157]
	v_fma_f64 v[130:131], v[130:131], s[14:15], -v[165:166]
	v_mul_f64 v[165:166], v[126:127], s[26:27]
	v_mul_f64 v[126:127], v[126:127], s[34:35]
	v_add_f64 v[144:145], v[146:147], -v[144:145]
	v_mul_f64 v[146:147], v[112:113], s[34:35]
	v_add_f64 v[14:15], v[14:15], v[56:57]
	v_add_f64 v[12:13], v[12:13], v[58:59]
	;; [unrolled: 1-line block ×3, first 2 shown]
	s_clause 0x1
	scratch_load_b32 v0, off, off offset:16
	scratch_load_b32 v1, off, off offset:1212
	v_add_f64 v[32:33], v[2:3], v[32:33]
	v_fma_f64 v[173:174], v[86:87], s[2:3], v[171:172]
	v_add_f64 v[50:51], v[148:149], v[50:51]
	v_add_f64 v[6:7], v[64:65], v[6:7]
	v_add_f64 v[54:55], v[158:159], v[54:55]
	v_add_f64 v[52:53], v[156:157], v[52:53]
	v_fma_f64 v[169:170], v[116:117], s[2:3], v[165:166]
	v_fma_f64 v[165:166], v[116:117], s[2:3], -v[165:166]
	v_fma_f64 v[116:117], v[116:117], s[20:21], -v[183:184]
	v_add_f64 v[126:127], v[128:129], -v[126:127]
	v_mul_f64 v[128:129], v[112:113], s[8:9]
	v_mul_f64 v[183:184], v[112:113], s[26:27]
	;; [unrolled: 1-line block ×3, first 2 shown]
	v_fma_f64 v[191:192], v[120:121], s[16:17], -v[146:147]
	v_fma_f64 v[146:147], v[120:121], s[16:17], v[146:147]
	v_add_f64 v[50:51], v[219:220], v[50:51]
	v_add_f64 v[6:7], v[217:218], v[6:7]
	;; [unrolled: 1-line block ×8, first 2 shown]
	v_fma_f64 v[189:190], v[120:121], s[18:19], -v[128:129]
	v_fma_f64 v[128:129], v[120:121], s[18:19], v[128:129]
	v_fma_f64 v[193:194], v[120:121], s[2:3], -v[183:184]
	v_fma_f64 v[183:184], v[120:121], s[2:3], v[183:184]
	;; [unrolled: 2-line block ×3, first 2 shown]
	v_mul_f64 v[120:121], v[120:121], s[22:23]
	v_add_f64 v[42:43], v[126:127], v[42:43]
	v_mul_f64 v[165:166], v[84:85], s[8:9]
	v_add_f64 v[64:65], v[146:147], v[68:69]
	v_add_f64 v[50:51], v[251:252], v[50:51]
	;; [unrolled: 1-line block ×10, first 2 shown]
	v_mul_f64 v[122:123], v[92:93], s[26:27]
	v_mul_f64 v[92:93], v[92:93], s[12:13]
	v_add_f64 v[42:43], v[144:145], v[42:43]
	v_fma_f64 v[169:170], v[86:87], s[18:19], v[165:166]
	v_fma_f64 v[165:166], v[86:87], s[18:19], -v[165:166]
	v_add_f64 v[70:71], v[233:234], v[70:71]
	v_fma_f64 v[205:206], v[88:89], s[2:3], -v[122:123]
	v_fma_f64 v[122:123], v[88:89], s[2:3], v[122:123]
	v_fma_f64 v[213:214], v[88:89], s[20:21], -v[92:93]
	v_fma_f64 v[92:93], v[88:89], s[20:21], v[92:93]
	v_mul_f64 v[88:89], v[88:89], s[16:17]
	v_add_f64 v[62:63], v[165:166], v[14:15]
	v_add_f64 v[66:67], v[122:123], v[66:67]
	;; [unrolled: 1-line block ×5, first 2 shown]
	v_mul_f64 v[90:91], v[118:119], s[28:29]
	v_mul_f64 v[118:119], v[118:119], s[12:13]
	v_add_f64 v[138:139], v[211:212], v[152:153]
	v_mul_f64 v[142:143], v[84:85], s[12:13]
	v_mul_f64 v[152:153], v[84:85], s[28:29]
	v_add_f64 v[44:45], v[128:129], v[66:67]
	v_add_f64 v[66:67], v[191:192], v[122:123]
	;; [unrolled: 1-line block ×4, first 2 shown]
	v_fma_f64 v[215:216], v[114:115], s[16:17], v[90:91]
	v_fma_f64 v[90:91], v[114:115], s[16:17], -v[90:91]
	v_fma_f64 v[114:115], v[114:115], s[18:19], -v[229:230]
	v_add_f64 v[118:119], v[124:125], -v[118:119]
	v_mul_f64 v[124:125], v[98:99], s[28:29]
	v_mul_f64 v[229:230], v[98:99], s[38:39]
	v_mul_f64 v[98:99], v[98:99], s[40:41]
	v_mul_f64 v[88:89], v[84:85], s[30:31]
	v_add_f64 v[92:93], v[187:188], v[136:137]
	v_add_f64 v[112:113], v[195:196], v[138:139]
	v_mul_f64 v[84:85], v[84:85], s[24:25]
	v_fma_f64 v[150:151], v[86:87], s[20:21], v[142:143]
	v_fma_f64 v[142:143], v[86:87], s[20:21], -v[142:143]
	v_add_f64 v[40:41], v[120:121], v[40:41]
	v_add_f64 v[46:47], v[215:216], v[46:47]
	;; [unrolled: 1-line block ×4, first 2 shown]
	v_mul_f64 v[114:115], v[80:81], s[8:9]
	v_fma_f64 v[237:238], v[102:103], s[16:17], -v[124:125]
	v_fma_f64 v[124:125], v[102:103], s[16:17], v[124:125]
	v_fma_f64 v[239:240], v[102:103], s[14:15], -v[229:230]
	v_fma_f64 v[229:230], v[102:103], s[14:15], v[229:230]
	;; [unrolled: 2-line block ×3, first 2 shown]
	v_mul_f64 v[102:103], v[102:103], s[20:21]
	v_add_f64 v[82:83], v[82:83], -v[84:85]
	v_add_f64 v[84:85], v[235:236], v[92:93]
	v_add_f64 v[92:93], v[243:244], v[112:113]
	v_mul_f64 v[112:113], v[80:81], s[28:29]
	v_add_f64 v[42:43], v[118:119], v[42:43]
	v_fma_f64 v[126:127], v[86:87], s[22:23], v[88:89]
	v_fma_f64 v[88:89], v[86:87], s[22:23], -v[88:89]
	v_add_f64 v[18:19], v[18:19], v[60:61]
	v_fma_f64 v[122:123], v[76:77], s[18:19], -v[114:115]
	v_fma_f64 v[114:115], v[76:77], s[18:19], v[114:115]
	v_add_f64 v[44:45], v[124:125], v[44:45]
	v_add_f64 v[66:67], v[239:240], v[66:67]
	;; [unrolled: 1-line block ×5, first 2 shown]
	v_mul_f64 v[104:105], v[108:109], s[12:13]
	v_mul_f64 v[98:99], v[80:81], s[30:31]
	v_add_f64 v[20:21], v[20:21], v[84:85]
	v_fma_f64 v[120:121], v[76:77], s[16:17], -v[112:113]
	v_fma_f64 v[112:113], v[76:77], s[16:17], v[112:113]
	v_add_f64 v[28:29], v[28:29], v[92:93]
	s_waitcnt vmcnt(0)
	v_lshl_add_u32 v0, v1, 4, v0
	v_add_f64 v[22:23], v[22:23], v[68:69]
	v_add_f64 v[40:41], v[102:103], v[40:41]
	v_fma_f64 v[247:248], v[106:107], s[20:21], v[104:105]
	v_fma_f64 v[104:105], v[106:107], s[20:21], -v[104:105]
	v_mul_f64 v[106:107], v[108:109], s[8:9]
	v_mul_f64 v[108:109], v[100:101], s[12:13]
	v_mul_f64 v[102:103], v[80:81], s[12:13]
	v_mul_f64 v[80:81], v[80:81], s[26:27]
	v_add_f64 v[60:61], v[114:115], v[20:21]
	v_add_f64 v[46:47], v[247:248], v[46:47]
	;; [unrolled: 1-line block ×3, first 2 shown]
	v_add_f64 v[106:107], v[110:111], -v[106:107]
	v_mul_f64 v[110:111], v[100:101], s[26:27]
	v_fma_f64 v[100:101], v[94:95], s[20:21], -v[108:109]
	v_fma_f64 v[108:109], v[94:95], s[20:21], v[108:109]
	v_fma_f64 v[118:119], v[76:77], s[20:21], -v[102:103]
	v_fma_f64 v[102:103], v[76:77], s[20:21], v[102:103]
	;; [unrolled: 2-line block ×3, first 2 shown]
	v_add_f64 v[38:39], v[126:127], v[46:47]
	v_add_f64 v[46:47], v[150:151], v[50:51]
	;; [unrolled: 1-line block ×3, first 2 shown]
	v_fma_f64 v[24:25], v[94:95], s[2:3], -v[110:111]
	v_fma_f64 v[26:27], v[94:95], s[2:3], v[110:111]
	v_fma_f64 v[110:111], v[94:95], s[14:15], -v[253:254]
	v_fma_f64 v[253:254], v[94:95], s[14:15], v[253:254]
	v_mul_f64 v[94:95], v[94:95], s[18:19]
	v_add_f64 v[44:45], v[108:109], v[44:45]
	v_add_f64 v[50:51], v[142:143], v[6:7]
	;; [unrolled: 1-line block ×11, first 2 shown]
	v_fma_f64 v[154:155], v[86:87], s[16:17], v[152:153]
	v_fma_f64 v[152:153], v[86:87], s[16:17], -v[152:153]
	v_fma_f64 v[86:87], v[86:87], s[2:3], -v[171:172]
	v_add_f64 v[70:71], v[169:170], v[12:13]
	v_add_f64 v[56:57], v[112:113], v[52:53]
	;; [unrolled: 1-line block ×11, first 2 shown]
	v_fma_f64 v[116:117], v[76:77], s[22:23], -v[98:99]
	v_fma_f64 v[98:99], v[76:77], s[22:23], v[98:99]
	v_mul_f64 v[76:77], v[76:77], s[14:15]
	v_add_f64 v[48:49], v[100:101], v[48:49]
	v_add_f64 v[68:69], v[110:111], v[90:91]
	;; [unrolled: 1-line block ×14, first 2 shown]
	ds_store_b128 v0, v[64:67] offset:32
	ds_store_b128 v0, v[60:63] offset:48
	;; [unrolled: 1-line block ×11, first 2 shown]
	ds_store_b128 v0, v[32:35]
	ds_store_b128 v0, v[72:75] offset:192
.LBB0_17:
	s_or_b32 exec_lo, exec_lo, s1
	s_waitcnt lgkmcnt(0)
	s_barrier
	buffer_gl0_inv
	ds_load_b128 v[32:35], v160 offset:3120
	ds_load_b128 v[36:39], v160 offset:6240
	s_clause 0x1
	scratch_load_b128 v[8:11], off, off offset:284
	scratch_load_b128 v[14:17], off, off offset:396
	ds_load_b128 v[40:43], v160 offset:9360
	ds_load_b128 v[122:125], v160
	ds_load_b128 v[144:147], v160 offset:1248
	s_mov_b32 s2, 0x134454ff
	s_mov_b32 s3, 0xbfee6f0e
	;; [unrolled: 1-line block ×10, first 2 shown]
	scratch_load_b128 v[18:21], off, off offset:412 ; 16-byte Folded Reload
	ds_load_b128 v[64:67], v160 offset:11856
	ds_load_b128 v[54:57], v160 offset:11232
	;; [unrolled: 1-line block ×4, first 2 shown]
	s_waitcnt vmcnt(2) lgkmcnt(8)
	v_mul_f64 v[0:1], v[10:11], v[34:35]
	v_mul_f64 v[2:3], v[10:11], v[32:33]
	scratch_load_b128 v[10:13], off, off offset:364 ; 16-byte Folded Reload
	v_fma_f64 v[100:101], v[8:9], v[32:33], v[0:1]
	v_fma_f64 v[104:105], v[8:9], v[34:35], -v[2:3]
	ds_load_b128 v[32:35], v160 offset:12480
	s_waitcnt vmcnt(0) lgkmcnt(8)
	v_mul_f64 v[4:5], v[12:13], v[38:39]
	v_mul_f64 v[6:7], v[12:13], v[36:37]
	s_delay_alu instid0(VALU_DEP_2) | instskip(NEXT) | instid1(VALU_DEP_2)
	v_fma_f64 v[106:107], v[10:11], v[36:37], v[4:5]
	v_fma_f64 v[108:109], v[10:11], v[38:39], -v[6:7]
	scratch_load_b128 v[10:13], off, off offset:380 ; 16-byte Folded Reload
	ds_load_b128 v[36:39], v160 offset:6864
	s_waitcnt lgkmcnt(8)
	v_mul_f64 v[0:1], v[20:21], v[42:43]
	v_mul_f64 v[2:3], v[20:21], v[40:41]
	s_waitcnt lgkmcnt(1)
	v_mul_f64 v[4:5], v[16:17], v[34:35]
	v_mul_f64 v[6:7], v[16:17], v[32:33]
	s_delay_alu instid0(VALU_DEP_4) | instskip(NEXT) | instid1(VALU_DEP_4)
	v_fma_f64 v[96:97], v[18:19], v[40:41], v[0:1]
	v_fma_f64 v[94:95], v[18:19], v[42:43], -v[2:3]
	scratch_load_b128 v[16:19], off, off offset:444 ; 16-byte Folded Reload
	ds_load_b128 v[42:45], v160 offset:9984
	v_fma_f64 v[102:103], v[14:15], v[32:33], v[4:5]
	v_fma_f64 v[98:99], v[14:15], v[34:35], -v[6:7]
	ds_load_b128 v[32:35], v160 offset:3744
	v_add_f64 v[28:29], v[96:97], -v[102:103]
	v_add_f64 v[116:117], v[104:105], -v[98:99]
	s_waitcnt vmcnt(1) lgkmcnt(2)
	v_mul_f64 v[8:9], v[12:13], v[38:39]
	v_mul_f64 v[0:1], v[12:13], v[36:37]
	s_delay_alu instid0(VALU_DEP_2) | instskip(NEXT) | instid1(VALU_DEP_2)
	v_fma_f64 v[40:41], v[10:11], v[36:37], v[8:9]
	v_fma_f64 v[110:111], v[10:11], v[38:39], -v[0:1]
	scratch_load_b128 v[10:13], off, off offset:268 ; 16-byte Folded Reload
	ds_load_b128 v[36:39], v160 offset:13104
	s_waitcnt vmcnt(1) lgkmcnt(2)
	v_mul_f64 v[2:3], v[18:19], v[44:45]
	v_mul_f64 v[4:5], v[18:19], v[42:43]
	scratch_load_b128 v[18:21], off, off offset:348 ; 16-byte Folded Reload
	v_fma_f64 v[62:63], v[16:17], v[42:43], v[2:3]
	v_fma_f64 v[112:113], v[16:17], v[44:45], -v[4:5]
	ds_load_b128 v[42:45], v160 offset:4368
	s_waitcnt vmcnt(1) lgkmcnt(2)
	v_mul_f64 v[0:1], v[12:13], v[34:35]
	v_mul_f64 v[6:7], v[12:13], v[32:33]
	scratch_load_b128 v[12:15], off, off offset:428 ; 16-byte Folded Reload
	s_waitcnt vmcnt(1) lgkmcnt(0)
	v_mul_f64 v[4:5], v[20:21], v[42:43]
	v_fma_f64 v[68:69], v[10:11], v[32:33], v[0:1]
	v_mul_f64 v[0:1], v[20:21], v[44:45]
	v_fma_f64 v[114:115], v[10:11], v[34:35], -v[6:7]
	ds_load_b128 v[32:35], v160 offset:7488
	v_fma_f64 v[70:71], v[18:19], v[44:45], -v[4:5]
	v_fma_f64 v[78:79], v[18:19], v[42:43], v[0:1]
	ds_load_b128 v[42:45], v160 offset:13728
	scratch_load_b128 v[18:21], off, off offset:576 ; 16-byte Folded Reload
	v_add_f64 v[30:31], v[114:115], -v[110:111]
	s_waitcnt vmcnt(1)
	v_mul_f64 v[8:9], v[14:15], v[38:39]
	v_mul_f64 v[2:3], v[14:15], v[36:37]
	scratch_load_b128 v[14:17], off, off offset:316 ; 16-byte Folded Reload
	v_fma_f64 v[76:77], v[12:13], v[36:37], v[8:9]
	v_fma_f64 v[90:91], v[12:13], v[38:39], -v[2:3]
	scratch_load_b128 v[10:13], off, off offset:332 ; 16-byte Folded Reload
	ds_load_b128 v[36:39], v160 offset:10608
	v_add_f64 v[22:23], v[114:115], v[90:91]
	s_waitcnt vmcnt(0) lgkmcnt(2)
	v_mul_f64 v[2:3], v[12:13], v[34:35]
	v_mul_f64 v[6:7], v[12:13], v[32:33]
	s_delay_alu instid0(VALU_DEP_2) | instskip(NEXT) | instid1(VALU_DEP_2)
	v_fma_f64 v[86:87], v[10:11], v[32:33], v[2:3]
	v_fma_f64 v[82:83], v[10:11], v[34:35], -v[6:7]
	scratch_load_b128 v[10:13], off, off offset:300 ; 16-byte Folded Reload
	s_waitcnt lgkmcnt(0)
	v_mul_f64 v[8:9], v[16:17], v[38:39]
	v_mul_f64 v[0:1], v[16:17], v[36:37]
	ds_load_b128 v[32:35], v160 offset:4992
	v_fma_f64 v[84:85], v[14:15], v[36:37], v[8:9]
	v_fma_f64 v[80:81], v[14:15], v[38:39], -v[0:1]
	ds_load_b128 v[36:39], v160 offset:8112
	s_waitcnt vmcnt(0)
	v_mul_f64 v[2:3], v[12:13], v[44:45]
	v_mul_f64 v[4:5], v[12:13], v[42:43]
	scratch_load_b128 v[12:15], off, off offset:496 ; 16-byte Folded Reload
	v_fma_f64 v[92:93], v[10:11], v[42:43], v[2:3]
	v_fma_f64 v[88:89], v[10:11], v[44:45], -v[4:5]
	s_waitcnt vmcnt(0) lgkmcnt(1)
	v_mul_f64 v[0:1], v[14:15], v[34:35]
	v_mul_f64 v[6:7], v[14:15], v[32:33]
	scratch_load_b128 v[14:17], off, off offset:544 ; 16-byte Folded Reload
	v_fma_f64 v[44:45], v[12:13], v[32:33], v[0:1]
	v_fma_f64 v[42:43], v[12:13], v[34:35], -v[6:7]
	scratch_load_b128 v[10:13], off, off offset:528 ; 16-byte Folded Reload
	ds_load_b128 v[32:35], v160 offset:14352
	s_waitcnt vmcnt(1) lgkmcnt(1)
	v_mul_f64 v[8:9], v[16:17], v[38:39]
	v_mul_f64 v[2:3], v[16:17], v[36:37]
	s_waitcnt vmcnt(0)
	v_mul_f64 v[0:1], v[12:13], v[56:57]
	v_mul_f64 v[4:5], v[12:13], v[54:55]
	s_delay_alu instid0(VALU_DEP_4) | instskip(NEXT) | instid1(VALU_DEP_4)
	v_fma_f64 v[52:53], v[14:15], v[36:37], v[8:9]
	v_fma_f64 v[46:47], v[14:15], v[38:39], -v[2:3]
	scratch_load_b128 v[12:15], off, off offset:560 ; 16-byte Folded Reload
	ds_load_b128 v[36:39], v160 offset:5616
	s_waitcnt lgkmcnt(0)
	v_mul_f64 v[8:9], v[20:21], v[38:39]
	v_fma_f64 v[50:51], v[10:11], v[54:55], v[0:1]
	v_fma_f64 v[48:49], v[10:11], v[56:57], -v[4:5]
	v_mul_f64 v[0:1], v[20:21], v[36:37]
	v_add_f64 v[20:21], v[110:111], v[112:113]
	s_waitcnt vmcnt(0)
	v_mul_f64 v[2:3], v[14:15], v[34:35]
	v_mul_f64 v[6:7], v[14:15], v[32:33]
	scratch_load_b128 v[14:17], off, off offset:512 ; 16-byte Folded Reload
	v_fma_f64 v[56:57], v[12:13], v[32:33], v[2:3]
	v_fma_f64 v[54:55], v[12:13], v[34:35], -v[6:7]
	scratch_load_b128 v[10:13], off, off offset:480 ; 16-byte Folded Reload
	v_fma_f64 v[34:35], v[18:19], v[36:37], v[8:9]
	v_fma_f64 v[32:33], v[18:19], v[38:39], -v[0:1]
	v_add_f64 v[8:9], v[106:107], v[96:97]
	v_add_f64 v[18:19], v[68:69], v[76:77]
	s_delay_alu instid0(VALU_DEP_2)
	v_fma_f64 v[8:9], v[8:9], -0.5, v[122:123]
	s_waitcnt vmcnt(1)
	v_mul_f64 v[2:3], v[16:17], v[60:61]
	v_mul_f64 v[4:5], v[16:17], v[58:59]
	v_add_f64 v[16:17], v[40:41], v[62:63]
	s_waitcnt vmcnt(0)
	v_mul_f64 v[6:7], v[12:13], v[66:67]
	v_mul_f64 v[0:1], v[12:13], v[64:65]
	v_fma_f64 v[36:37], v[14:15], v[58:59], v[2:3]
	v_fma_f64 v[38:39], v[14:15], v[60:61], -v[4:5]
	scratch_load_b128 v[12:15], off, off offset:464 ; 16-byte Folded Reload
	v_fma_f64 v[60:61], v[10:11], v[64:65], v[6:7]
	v_fma_f64 v[58:59], v[10:11], v[66:67], -v[0:1]
	v_add_f64 v[0:1], v[100:101], -v[106:107]
	v_add_f64 v[6:7], v[102:103], -v[96:97]
	v_add_f64 v[10:11], v[108:109], v[94:95]
	s_delay_alu instid0(VALU_DEP_2) | instskip(SKIP_1) | instid1(VALU_DEP_3)
	v_add_f64 v[0:1], v[0:1], v[6:7]
	v_fma_f64 v[6:7], v[116:117], s[2:3], v[8:9]
	v_fma_f64 v[10:11], v[10:11], -0.5, v[124:125]
	s_waitcnt vmcnt(0)
	v_mul_f64 v[2:3], v[14:15], v[120:121]
	v_mul_f64 v[4:5], v[14:15], v[118:119]
	s_delay_alu instid0(VALU_DEP_2) | instskip(SKIP_1) | instid1(VALU_DEP_3)
	v_fma_f64 v[66:67], v[12:13], v[118:119], v[2:3]
	v_add_f64 v[2:3], v[108:109], -v[94:95]
	v_fma_f64 v[64:65], v[12:13], v[120:121], -v[4:5]
	v_add_f64 v[118:119], v[100:101], -v[102:103]
	v_add_f64 v[4:5], v[104:105], -v[108:109]
	;; [unrolled: 1-line block ×3, first 2 shown]
	v_fma_f64 v[6:7], v[2:3], s[8:9], v[6:7]
	s_delay_alu instid0(VALU_DEP_4) | instskip(NEXT) | instid1(VALU_DEP_3)
	v_fma_f64 v[14:15], v[118:119], s[14:15], v[10:11]
	v_add_f64 v[4:5], v[4:5], v[12:13]
	v_add_f64 v[12:13], v[106:107], -v[96:97]
	s_delay_alu instid0(VALU_DEP_4) | instskip(SKIP_4) | instid1(VALU_DEP_4)
	v_fma_f64 v[126:127], v[0:1], s[16:17], v[6:7]
	v_fma_f64 v[6:7], v[116:117], s[14:15], v[8:9]
	;; [unrolled: 1-line block ×3, first 2 shown]
	v_add_f64 v[10:11], v[106:107], -v[100:101]
	v_fma_f64 v[14:15], v[12:13], s[12:13], v[14:15]
	v_fma_f64 v[6:7], v[2:3], s[12:13], v[6:7]
	s_delay_alu instid0(VALU_DEP_4) | instskip(NEXT) | instid1(VALU_DEP_4)
	v_fma_f64 v[8:9], v[12:13], s[8:9], v[8:9]
	v_add_f64 v[10:11], v[10:11], v[28:29]
	s_delay_alu instid0(VALU_DEP_4)
	v_fma_f64 v[128:129], v[4:5], s[16:17], v[14:15]
	v_add_f64 v[14:15], v[108:109], -v[104:105]
	v_fma_f64 v[136:137], v[0:1], s[16:17], v[6:7]
	v_fma_f64 v[138:139], v[4:5], s[16:17], v[8:9]
	v_add_f64 v[6:7], v[122:123], v[100:101]
	v_add_f64 v[8:9], v[124:125], v[104:105]
	;; [unrolled: 1-line block ×4, first 2 shown]
	s_delay_alu instid0(VALU_DEP_4) | instskip(NEXT) | instid1(VALU_DEP_4)
	v_add_f64 v[6:7], v[6:7], v[106:107]
	v_add_f64 v[8:9], v[8:9], v[108:109]
	ds_load_b128 v[104:107], v160 offset:624
	v_fma_f64 v[0:1], v[0:1], -0.5, v[122:123]
	v_fma_f64 v[4:5], v[4:5], -0.5, v[124:125]
	v_add_f64 v[108:109], v[112:113], -v[90:91]
	s_waitcnt lgkmcnt(0)
	v_add_f64 v[24:25], v[104:105], v[68:69]
	v_add_f64 v[26:27], v[106:107], v[114:115]
	v_fma_f64 v[16:17], v[16:17], -0.5, v[104:105]
	v_fma_f64 v[18:19], v[18:19], -0.5, v[104:105]
	;; [unrolled: 1-line block ×4, first 2 shown]
	v_add_f64 v[104:105], v[110:111], -v[112:113]
	v_add_f64 v[106:107], v[90:91], -v[112:113]
	v_add_f64 v[6:7], v[6:7], v[96:97]
	v_add_f64 v[8:9], v[8:9], v[94:95]
	;; [unrolled: 1-line block ×3, first 2 shown]
	s_delay_alu instid0(VALU_DEP_3) | instskip(NEXT) | instid1(VALU_DEP_3)
	v_add_f64 v[100:101], v[6:7], v[102:103]
	v_add_f64 v[102:103], v[8:9], v[98:99]
	v_fma_f64 v[8:9], v[2:3], s[14:15], v[0:1]
	v_fma_f64 v[0:1], v[2:3], s[2:3], v[0:1]
	;; [unrolled: 1-line block ×4, first 2 shown]
	v_add_f64 v[12:13], v[26:27], v[110:111]
	v_add_f64 v[6:7], v[94:95], -v[98:99]
	v_add_f64 v[26:27], v[114:115], -v[90:91]
	;; [unrolled: 1-line block ×3, first 2 shown]
	v_add_f64 v[24:25], v[24:25], v[62:63]
	v_fma_f64 v[8:9], v[116:117], s[8:9], v[8:9]
	v_fma_f64 v[0:1], v[116:117], s[12:13], v[0:1]
	v_fma_f64 v[2:3], v[118:119], s[12:13], v[2:3]
	v_fma_f64 v[4:5], v[118:119], s[8:9], v[4:5]
	v_add_f64 v[12:13], v[12:13], v[112:113]
	v_add_f64 v[6:7], v[14:15], v[6:7]
	;; [unrolled: 1-line block ×4, first 2 shown]
	v_add_f64 v[24:25], v[40:41], -v[68:69]
	v_fma_f64 v[108:109], v[10:11], s[16:17], v[0:1]
	v_add_f64 v[0:1], v[92:93], -v[84:85]
	v_add_f64 v[96:97], v[12:13], v[90:91]
	v_add_f64 v[12:13], v[68:69], -v[40:41]
	v_add_f64 v[68:69], v[68:69], -v[76:77]
	;; [unrolled: 1-line block ×5, first 2 shown]
	v_fma_f64 v[62:63], v[104:105], s[14:15], v[18:19]
	v_fma_f64 v[18:19], v[104:105], s[2:3], v[18:19]
	;; [unrolled: 1-line block ×3, first 2 shown]
	v_add_f64 v[4:5], v[70:71], -v[82:83]
	v_add_f64 v[12:13], v[12:13], v[90:91]
	v_add_f64 v[14:15], v[24:25], v[76:77]
	;; [unrolled: 1-line block ×3, first 2 shown]
	v_fma_f64 v[30:31], v[26:27], s[2:3], v[16:17]
	v_fma_f64 v[16:17], v[26:27], s[14:15], v[16:17]
	;; [unrolled: 1-line block ×5, first 2 shown]
	v_add_f64 v[2:3], v[78:79], -v[86:87]
	v_fma_f64 v[90:91], v[40:41], s[2:3], v[22:23]
	v_fma_f64 v[22:23], v[40:41], s[14:15], v[22:23]
	;; [unrolled: 1-line block ×3, first 2 shown]
	v_add_f64 v[6:7], v[88:89], -v[80:81]
	v_fma_f64 v[30:31], v[104:105], s[8:9], v[30:31]
	v_fma_f64 v[16:17], v[104:105], s[12:13], v[16:17]
	;; [unrolled: 1-line block ×6, first 2 shown]
	v_add_f64 v[8:9], v[86:87], v[84:85]
	v_add_f64 v[0:1], v[2:3], v[0:1]
	;; [unrolled: 1-line block ×3, first 2 shown]
	v_fma_f64 v[140:141], v[14:15], s[16:17], v[18:19]
	v_add_f64 v[4:5], v[4:5], v[6:7]
	v_add_f64 v[6:7], v[70:71], -v[88:89]
	v_add_f64 v[10:11], v[82:83], -v[80:81]
	v_fma_f64 v[26:27], v[68:69], s[12:13], v[90:91]
	v_fma_f64 v[22:23], v[68:69], s[8:9], v[22:23]
	;; [unrolled: 1-line block ×4, first 2 shown]
	v_add_f64 v[16:17], v[86:87], -v[84:85]
	v_fma_f64 v[118:119], v[24:25], s[16:17], v[20:21]
	v_fma_f64 v[120:121], v[14:15], s[16:17], v[40:41]
	v_add_f64 v[14:15], v[78:79], -v[92:93]
	v_fma_f64 v[8:9], v[8:9], -0.5, v[144:145]
	v_add_f64 v[20:21], v[84:85], -v[92:93]
	v_fma_f64 v[2:3], v[2:3], -0.5, v[146:147]
	v_fma_f64 v[114:115], v[24:25], s[16:17], v[76:77]
	v_fma_f64 v[122:123], v[28:29], s[16:17], v[26:27]
	v_fma_f64 v[142:143], v[28:29], s[16:17], v[22:23]
	v_fma_f64 v[12:13], v[6:7], s[2:3], v[8:9]
	v_fma_f64 v[8:9], v[6:7], s[14:15], v[8:9]
	v_fma_f64 v[18:19], v[14:15], s[14:15], v[2:3]
	v_fma_f64 v[2:3], v[14:15], s[2:3], v[2:3]
	s_delay_alu instid0(VALU_DEP_4) | instskip(NEXT) | instid1(VALU_DEP_4)
	v_fma_f64 v[12:13], v[10:11], s[8:9], v[12:13]
	v_fma_f64 v[8:9], v[10:11], s[12:13], v[8:9]
	s_delay_alu instid0(VALU_DEP_4) | instskip(NEXT) | instid1(VALU_DEP_4)
	v_fma_f64 v[18:19], v[16:17], s[12:13], v[18:19]
	v_fma_f64 v[2:3], v[16:17], s[8:9], v[2:3]
	;; [unrolled: 3-line block ×4, first 2 shown]
	v_add_f64 v[4:5], v[144:145], v[78:79]
	v_add_f64 v[8:9], v[146:147], v[70:71]
	v_add_f64 v[0:1], v[78:79], v[92:93]
	v_add_f64 v[2:3], v[70:71], v[88:89]
	v_add_f64 v[12:13], v[86:87], -v[78:79]
	v_add_f64 v[4:5], v[4:5], v[86:87]
	v_add_f64 v[8:9], v[8:9], v[82:83]
	v_fma_f64 v[0:1], v[0:1], -0.5, v[144:145]
	v_fma_f64 v[2:3], v[2:3], -0.5, v[146:147]
	v_add_f64 v[12:13], v[12:13], v[20:21]
	v_add_f64 v[20:21], v[50:51], -v[56:57]
	v_add_f64 v[4:5], v[4:5], v[84:85]
	v_add_f64 v[8:9], v[8:9], v[80:81]
	v_fma_f64 v[18:19], v[10:11], s[14:15], v[0:1]
	v_fma_f64 v[0:1], v[10:11], s[2:3], v[0:1]
	v_add_f64 v[10:11], v[82:83], -v[70:71]
	ds_load_b128 v[84:87], v160 offset:1872
	v_add_f64 v[68:69], v[4:5], v[92:93]
	v_add_f64 v[70:71], v[8:9], v[88:89]
	v_add_f64 v[4:5], v[80:81], -v[88:89]
	v_fma_f64 v[8:9], v[16:17], s[2:3], v[2:3]
	v_fma_f64 v[2:3], v[16:17], s[14:15], v[2:3]
	;; [unrolled: 1-line block ×4, first 2 shown]
	v_add_f64 v[6:7], v[44:45], -v[52:53]
	v_add_f64 v[4:5], v[10:11], v[4:5]
	v_fma_f64 v[8:9], v[14:15], s[12:13], v[8:9]
	v_add_f64 v[10:11], v[56:57], -v[50:51]
	v_fma_f64 v[2:3], v[14:15], s[8:9], v[2:3]
	v_add_f64 v[14:15], v[42:43], -v[46:47]
	v_fma_f64 v[80:81], v[12:13], s[16:17], v[0:1]
	v_fma_f64 v[76:77], v[12:13], s[16:17], v[16:17]
	v_add_f64 v[16:17], v[52:53], -v[50:51]
	v_fma_f64 v[78:79], v[4:5], s[16:17], v[8:9]
	v_add_f64 v[8:9], v[52:53], v[50:51]
	v_add_f64 v[6:7], v[6:7], v[10:11]
	v_add_f64 v[10:11], v[54:55], -v[48:49]
	v_fma_f64 v[82:83], v[4:5], s[16:17], v[2:3]
	v_add_f64 v[2:3], v[46:47], v[48:49]
	v_add_f64 v[4:5], v[42:43], -v[54:55]
	s_waitcnt lgkmcnt(0)
	v_fma_f64 v[0:1], v[8:9], -0.5, v[84:85]
	v_add_f64 v[8:9], v[46:47], -v[48:49]
	v_add_f64 v[10:11], v[14:15], v[10:11]
	v_add_f64 v[14:15], v[44:45], -v[56:57]
	v_fma_f64 v[2:3], v[2:3], -0.5, v[86:87]
	v_fma_f64 v[12:13], v[4:5], s[2:3], v[0:1]
	v_fma_f64 v[0:1], v[4:5], s[14:15], v[0:1]
	s_delay_alu instid0(VALU_DEP_3) | instskip(SKIP_1) | instid1(VALU_DEP_4)
	v_fma_f64 v[18:19], v[14:15], s[14:15], v[2:3]
	v_fma_f64 v[2:3], v[14:15], s[2:3], v[2:3]
	;; [unrolled: 1-line block ×3, first 2 shown]
	s_delay_alu instid0(VALU_DEP_4) | instskip(NEXT) | instid1(VALU_DEP_4)
	v_fma_f64 v[0:1], v[8:9], s[12:13], v[0:1]
	v_fma_f64 v[18:19], v[16:17], s[12:13], v[18:19]
	s_delay_alu instid0(VALU_DEP_4) | instskip(NEXT) | instid1(VALU_DEP_4)
	v_fma_f64 v[2:3], v[16:17], s[8:9], v[2:3]
	v_fma_f64 v[88:89], v[6:7], s[16:17], v[12:13]
	s_delay_alu instid0(VALU_DEP_4)
	v_fma_f64 v[144:145], v[6:7], s[16:17], v[0:1]
	v_add_f64 v[0:1], v[44:45], v[56:57]
	v_add_f64 v[6:7], v[84:85], v[44:45]
	v_fma_f64 v[90:91], v[10:11], s[16:17], v[18:19]
	v_fma_f64 v[146:147], v[10:11], s[16:17], v[2:3]
	v_add_f64 v[10:11], v[86:87], v[42:43]
	v_add_f64 v[2:3], v[42:43], v[54:55]
	v_add_f64 v[12:13], v[52:53], -v[44:45]
	v_fma_f64 v[0:1], v[0:1], -0.5, v[84:85]
	v_add_f64 v[6:7], v[6:7], v[52:53]
	s_delay_alu instid0(VALU_DEP_4) | instskip(NEXT) | instid1(VALU_DEP_4)
	v_fma_f64 v[2:3], v[2:3], -0.5, v[86:87]
	v_add_f64 v[12:13], v[12:13], v[20:21]
	v_add_f64 v[20:21], v[66:67], -v[60:61]
	v_fma_f64 v[18:19], v[8:9], s[14:15], v[0:1]
	v_fma_f64 v[0:1], v[8:9], s[2:3], v[0:1]
	v_add_f64 v[8:9], v[10:11], v[46:47]
	v_add_f64 v[6:7], v[6:7], v[50:51]
	v_add_f64 v[10:11], v[46:47], -v[42:43]
	s_delay_alu instid0(VALU_DEP_4) | instskip(NEXT) | instid1(VALU_DEP_4)
	v_fma_f64 v[0:1], v[4:5], s[12:13], v[0:1]
	v_add_f64 v[8:9], v[8:9], v[48:49]
	s_delay_alu instid0(VALU_DEP_4) | instskip(SKIP_1) | instid1(VALU_DEP_4)
	v_add_f64 v[40:41], v[6:7], v[56:57]
	v_add_f64 v[6:7], v[48:49], -v[54:55]
	v_fma_f64 v[48:49], v[12:13], s[16:17], v[0:1]
	s_delay_alu instid0(VALU_DEP_4)
	v_add_f64 v[42:43], v[8:9], v[54:55]
	v_fma_f64 v[8:9], v[16:17], s[2:3], v[2:3]
	v_fma_f64 v[2:3], v[16:17], s[14:15], v[2:3]
	;; [unrolled: 1-line block ×3, first 2 shown]
	v_add_f64 v[4:5], v[10:11], v[6:7]
	ds_load_b128 v[52:55], v160 offset:2496
	v_add_f64 v[0:1], v[60:61], -v[66:67]
	v_add_f64 v[10:11], v[32:33], -v[64:65]
	s_waitcnt lgkmcnt(0)
	s_barrier
	buffer_gl0_inv
	v_fma_f64 v[6:7], v[14:15], s[12:13], v[8:9]
	v_fma_f64 v[2:3], v[14:15], s[8:9], v[2:3]
	v_add_f64 v[8:9], v[38:39], -v[58:59]
	v_fma_f64 v[44:45], v[12:13], s[16:17], v[16:17]
	v_add_f64 v[14:15], v[36:37], -v[60:61]
	v_add_f64 v[16:17], v[34:35], -v[66:67]
	v_fma_f64 v[46:47], v[4:5], s[16:17], v[6:7]
	v_fma_f64 v[50:51], v[4:5], s[16:17], v[2:3]
	v_add_f64 v[2:3], v[38:39], -v[32:33]
	v_add_f64 v[4:5], v[58:59], -v[64:65]
	;; [unrolled: 1-line block ×3, first 2 shown]
	s_delay_alu instid0(VALU_DEP_2) | instskip(SKIP_1) | instid1(VALU_DEP_3)
	v_add_f64 v[2:3], v[2:3], v[4:5]
	v_add_f64 v[4:5], v[34:35], v[66:67]
	;; [unrolled: 1-line block ×4, first 2 shown]
	s_delay_alu instid0(VALU_DEP_3) | instskip(NEXT) | instid1(VALU_DEP_2)
	v_fma_f64 v[4:5], v[4:5], -0.5, v[52:53]
	v_fma_f64 v[6:7], v[6:7], -0.5, v[54:55]
	s_delay_alu instid0(VALU_DEP_2) | instskip(SKIP_1) | instid1(VALU_DEP_3)
	v_fma_f64 v[12:13], v[8:9], s[14:15], v[4:5]
	v_fma_f64 v[4:5], v[8:9], s[2:3], v[4:5]
	;; [unrolled: 1-line block ×4, first 2 shown]
	s_delay_alu instid0(VALU_DEP_4) | instskip(NEXT) | instid1(VALU_DEP_4)
	v_fma_f64 v[12:13], v[10:11], s[8:9], v[12:13]
	v_fma_f64 v[4:5], v[10:11], s[12:13], v[4:5]
	s_delay_alu instid0(VALU_DEP_4) | instskip(NEXT) | instid1(VALU_DEP_4)
	v_fma_f64 v[18:19], v[16:17], s[12:13], v[18:19]
	v_fma_f64 v[6:7], v[16:17], s[8:9], v[6:7]
	;; [unrolled: 3-line block ×3, first 2 shown]
	v_add_f64 v[0:1], v[36:37], v[60:61]
	v_fma_f64 v[86:87], v[2:3], s[16:17], v[18:19]
	v_add_f64 v[12:13], v[34:35], -v[36:37]
	v_fma_f64 v[158:159], v[2:3], s[16:17], v[6:7]
	v_add_f64 v[6:7], v[54:55], v[32:33]
	v_add_f64 v[4:5], v[52:53], v[34:35]
	;; [unrolled: 1-line block ×3, first 2 shown]
	v_fma_f64 v[0:1], v[0:1], -0.5, v[52:53]
	v_add_f64 v[12:13], v[12:13], v[20:21]
	v_add_f64 v[6:7], v[6:7], v[38:39]
	;; [unrolled: 1-line block ×3, first 2 shown]
	v_fma_f64 v[2:3], v[2:3], -0.5, v[54:55]
	v_fma_f64 v[18:19], v[10:11], s[2:3], v[0:1]
	v_fma_f64 v[0:1], v[10:11], s[14:15], v[0:1]
	v_add_f64 v[10:11], v[32:33], -v[38:39]
	v_add_f64 v[6:7], v[6:7], v[58:59]
	v_add_f64 v[4:5], v[4:5], v[60:61]
	s_delay_alu instid0(VALU_DEP_4) | instskip(NEXT) | instid1(VALU_DEP_3)
	v_fma_f64 v[0:1], v[8:9], s[12:13], v[0:1]
	v_add_f64 v[38:39], v[6:7], v[64:65]
	s_delay_alu instid0(VALU_DEP_3)
	v_add_f64 v[36:37], v[4:5], v[66:67]
	v_add_f64 v[4:5], v[64:65], -v[58:59]
	v_fma_f64 v[6:7], v[16:17], s[14:15], v[2:3]
	v_fma_f64 v[2:3], v[16:17], s[2:3], v[2:3]
	;; [unrolled: 1-line block ×4, first 2 shown]
	scratch_load_b32 v0, off, off offset:460 ; 4-byte Folded Reload
	s_waitcnt vmcnt(0)
	ds_store_b128 v0, v[100:103]
	ds_store_b128 v0, v[126:129] offset:208
	ds_store_b128 v0, v[104:107] offset:416
	;; [unrolled: 1-line block ×4, first 2 shown]
	scratch_load_b32 v0, off, off offset:604 ; 4-byte Folded Reload
	v_add_f64 v[4:5], v[10:11], v[4:5]
	v_fma_f64 v[6:7], v[14:15], s[12:13], v[6:7]
	v_fma_f64 v[2:3], v[14:15], s[8:9], v[2:3]
	;; [unrolled: 1-line block ×3, first 2 shown]
	s_waitcnt vmcnt(0)
	ds_store_b128 v0, v[94:97]
	ds_store_b128 v0, v[112:115] offset:208
	ds_store_b128 v0, v[120:123] offset:416
	;; [unrolled: 1-line block ×4, first 2 shown]
	scratch_load_b32 v0, off, off offset:600 ; 4-byte Folded Reload
	v_fma_f64 v[54:55], v[4:5], s[16:17], v[6:7]
	v_fma_f64 v[34:35], v[4:5], s[16:17], v[2:3]
	s_waitcnt vmcnt(0)
	ds_store_b128 v0, v[68:71]
	ds_store_b128 v0, v[148:151] offset:208
	ds_store_b128 v0, v[76:79] offset:416
	;; [unrolled: 1-line block ×4, first 2 shown]
	scratch_load_b32 v0, off, off offset:596 ; 4-byte Folded Reload
	s_waitcnt vmcnt(0)
	ds_store_b128 v0, v[40:43]
	ds_store_b128 v0, v[88:91] offset:208
	ds_store_b128 v0, v[44:47] offset:416
	;; [unrolled: 1-line block ×4, first 2 shown]
	scratch_load_b32 v0, off, off offset:592 ; 4-byte Folded Reload
	s_waitcnt vmcnt(0)
	ds_store_b128 v0, v[36:39]
	ds_store_b128 v0, v[52:55] offset:208
	ds_store_b128 v0, v[84:87] offset:416
	;; [unrolled: 1-line block ×4, first 2 shown]
	s_waitcnt lgkmcnt(0)
	s_barrier
	buffer_gl0_inv
	ds_load_b128 v[64:67], v160
	ds_load_b128 v[60:63], v160 offset:624
	ds_load_b128 v[136:139], v160 offset:5200
	;; [unrolled: 1-line block ×23, first 2 shown]
	s_and_saveexec_b32 s1, s0
	s_cbranch_execz .LBB0_19
; %bb.18:
	ds_load_b128 v[32:35], v160 offset:4992
	ds_load_b128 v[72:75], v160 offset:10192
	;; [unrolled: 1-line block ×3, first 2 shown]
	s_waitcnt lgkmcnt(0)
	scratch_store_b128 off, v[0:3], off offset:20 ; 16-byte Folded Spill
.LBB0_19:
	s_or_b32 exec_lo, exec_lo, s1
	s_clause 0x6
	scratch_load_b128 v[4:7], off, off offset:608
	scratch_load_b128 v[20:23], off, off offset:624
	;; [unrolled: 1-line block ×7, first 2 shown]
	s_mov_b32 s2, 0xe8584caa
	s_mov_b32 s3, 0xbfebb67a
	;; [unrolled: 1-line block ×4, first 2 shown]
	s_waitcnt vmcnt(6) lgkmcnt(21)
	v_mul_f64 v[0:1], v[6:7], v[138:139]
	v_mul_f64 v[2:3], v[6:7], v[136:137]
	s_waitcnt vmcnt(4) lgkmcnt(19)
	v_mul_f64 v[6:7], v[10:11], v[128:129]
	s_delay_alu instid0(VALU_DEP_3) | instskip(NEXT) | instid1(VALU_DEP_3)
	v_fma_f64 v[0:1], v[4:5], v[136:137], v[0:1]
	v_fma_f64 v[2:3], v[4:5], v[138:139], -v[2:3]
	v_mul_f64 v[4:5], v[10:11], v[130:131]
	s_delay_alu instid0(VALU_DEP_4) | instskip(SKIP_2) | instid1(VALU_DEP_3)
	v_fma_f64 v[6:7], v[8:9], v[130:131], -v[6:7]
	s_waitcnt vmcnt(2)
	v_mul_f64 v[10:11], v[14:15], v[124:125]
	v_fma_f64 v[4:5], v[8:9], v[128:129], v[4:5]
	v_mul_f64 v[8:9], v[14:15], v[126:127]
	s_delay_alu instid0(VALU_DEP_3) | instskip(SKIP_2) | instid1(VALU_DEP_3)
	v_fma_f64 v[10:11], v[12:13], v[126:127], -v[10:11]
	s_waitcnt vmcnt(1) lgkmcnt(18)
	v_mul_f64 v[14:15], v[18:19], v[116:117]
	v_fma_f64 v[8:9], v[12:13], v[124:125], v[8:9]
	v_mul_f64 v[12:13], v[18:19], v[118:119]
	s_delay_alu instid0(VALU_DEP_3) | instskip(SKIP_2) | instid1(VALU_DEP_3)
	v_fma_f64 v[14:15], v[16:17], v[118:119], -v[14:15]
	s_waitcnt lgkmcnt(15)
	v_mul_f64 v[18:19], v[22:23], v[120:121]
	v_fma_f64 v[12:13], v[16:17], v[116:117], v[12:13]
	v_mul_f64 v[16:17], v[22:23], v[122:123]
	s_delay_alu instid0(VALU_DEP_3) | instskip(SKIP_2) | instid1(VALU_DEP_3)
	v_fma_f64 v[18:19], v[20:21], v[122:123], -v[18:19]
	s_waitcnt lgkmcnt(13)
	v_mul_f64 v[22:23], v[26:27], v[112:113]
	v_fma_f64 v[16:17], v[20:21], v[120:121], v[16:17]
	v_mul_f64 v[20:21], v[26:27], v[114:115]
	s_delay_alu instid0(VALU_DEP_3) | instskip(SKIP_2) | instid1(VALU_DEP_3)
	v_fma_f64 v[22:23], v[24:25], v[114:115], -v[22:23]
	s_waitcnt vmcnt(0)
	v_mul_f64 v[26:27], v[30:31], v[108:109]
	v_fma_f64 v[20:21], v[24:25], v[112:113], v[20:21]
	v_mul_f64 v[24:25], v[30:31], v[110:111]
	s_delay_alu instid0(VALU_DEP_3) | instskip(NEXT) | instid1(VALU_DEP_2)
	v_fma_f64 v[26:27], v[28:29], v[110:111], -v[26:27]
	v_fma_f64 v[24:25], v[28:29], v[108:109], v[24:25]
	scratch_load_b128 v[108:111], off, off offset:940 ; 16-byte Folded Reload
	s_waitcnt vmcnt(0) lgkmcnt(12)
	v_mul_f64 v[28:29], v[110:111], v[102:103]
	v_mul_f64 v[30:31], v[110:111], v[100:101]
	s_delay_alu instid0(VALU_DEP_2) | instskip(NEXT) | instid1(VALU_DEP_2)
	v_fma_f64 v[28:29], v[108:109], v[100:101], v[28:29]
	v_fma_f64 v[30:31], v[108:109], v[102:103], -v[30:31]
	scratch_load_b128 v[108:111], off, off offset:956 ; 16-byte Folded Reload
	s_waitcnt vmcnt(0) lgkmcnt(9)
	v_mul_f64 v[100:101], v[110:111], v[106:107]
	v_mul_f64 v[102:103], v[110:111], v[104:105]
	s_delay_alu instid0(VALU_DEP_2) | instskip(NEXT) | instid1(VALU_DEP_2)
	v_fma_f64 v[100:101], v[108:109], v[104:105], v[100:101]
	v_fma_f64 v[102:103], v[108:109], v[106:107], -v[102:103]
	scratch_load_b128 v[106:109], off, off offset:972 ; 16-byte Folded Reload
	s_waitcnt vmcnt(0) lgkmcnt(7)
	v_mul_f64 v[104:105], v[108:109], v[98:99]
	s_delay_alu instid0(VALU_DEP_1) | instskip(SKIP_1) | instid1(VALU_DEP_1)
	v_fma_f64 v[104:105], v[106:107], v[96:97], v[104:105]
	v_mul_f64 v[96:97], v[108:109], v[96:97]
	v_fma_f64 v[96:97], v[106:107], v[98:99], -v[96:97]
	scratch_load_b128 v[106:109], off, off offset:988 ; 16-byte Folded Reload
	s_waitcnt vmcnt(0)
	v_mul_f64 v[98:99], v[108:109], v[94:95]
	s_delay_alu instid0(VALU_DEP_1) | instskip(SKIP_1) | instid1(VALU_DEP_2)
	v_fma_f64 v[98:99], v[106:107], v[92:93], v[98:99]
	v_mul_f64 v[92:93], v[108:109], v[92:93]
	v_add_f64 v[117:118], v[44:45], v[98:99]
	s_delay_alu instid0(VALU_DEP_2) | instskip(SKIP_4) | instid1(VALU_DEP_1)
	v_fma_f64 v[92:93], v[106:107], v[94:95], -v[92:93]
	scratch_load_b128 v[106:109], off, off offset:1004 ; 16-byte Folded Reload
	v_add_f64 v[121:122], v[46:47], v[92:93]
	s_waitcnt vmcnt(0) lgkmcnt(6)
	v_mul_f64 v[94:95], v[108:109], v[86:87]
	v_fma_f64 v[94:95], v[106:107], v[84:85], v[94:95]
	v_mul_f64 v[84:85], v[108:109], v[84:85]
	s_delay_alu instid0(VALU_DEP_1) | instskip(SKIP_3) | instid1(VALU_DEP_1)
	v_fma_f64 v[84:85], v[106:107], v[86:87], -v[84:85]
	scratch_load_b128 v[106:109], off, off offset:1020 ; 16-byte Folded Reload
	s_waitcnt vmcnt(0) lgkmcnt(3)
	v_mul_f64 v[86:87], v[108:109], v[90:91]
	v_fma_f64 v[125:126], v[106:107], v[88:89], v[86:87]
	v_mul_f64 v[86:87], v[108:109], v[88:89]
	s_delay_alu instid0(VALU_DEP_1) | instskip(SKIP_3) | instid1(VALU_DEP_1)
	v_fma_f64 v[127:128], v[106:107], v[90:91], -v[86:87]
	scratch_load_b128 v[88:91], off, off offset:1036 ; 16-byte Folded Reload
	;; [unrolled: 7-line block ×3, first 2 shown]
	s_waitcnt vmcnt(0)
	v_mul_f64 v[80:81], v[88:89], v[78:79]
	v_fma_f64 v[140:141], v[86:87], v[76:77], v[80:81]
	v_mul_f64 v[76:77], v[88:89], v[76:77]
	v_add_f64 v[88:89], v[50:51], v[102:103]
	s_delay_alu instid0(VALU_DEP_2)
	v_fma_f64 v[142:143], v[86:87], v[78:79], -v[76:77]
	scratch_load_b128 v[78:81], off, off offset:1068 ; 16-byte Folded Reload
	s_waitcnt vmcnt(0) lgkmcnt(0)
	s_waitcnt_vscnt null, 0x0
	s_barrier
	buffer_gl0_inv
	v_mul_f64 v[76:77], v[80:81], v[70:71]
	s_delay_alu instid0(VALU_DEP_1) | instskip(SKIP_2) | instid1(VALU_DEP_2)
	v_fma_f64 v[144:145], v[78:79], v[68:69], v[76:77]
	v_mul_f64 v[68:69], v[80:81], v[68:69]
	v_add_f64 v[80:81], v[48:49], v[100:101]
	v_fma_f64 v[146:147], v[78:79], v[70:71], -v[68:69]
	v_add_f64 v[68:69], v[0:1], v[4:5]
	v_add_f64 v[70:71], v[2:3], v[6:7]
	s_delay_alu instid0(VALU_DEP_2) | instskip(SKIP_1) | instid1(VALU_DEP_3)
	v_fma_f64 v[76:77], v[68:69], -0.5, v[64:65]
	v_add_f64 v[68:69], v[8:9], v[12:13]
	v_fma_f64 v[78:79], v[70:71], -0.5, v[66:67]
	v_add_f64 v[64:65], v[64:65], v[0:1]
	v_add_f64 v[66:67], v[66:67], v[2:3]
	;; [unrolled: 1-line block ×3, first 2 shown]
	v_add_f64 v[0:1], v[0:1], -v[4:5]
	v_add_f64 v[2:3], v[2:3], -v[6:7]
	v_fma_f64 v[82:83], v[68:69], -0.5, v[60:61]
	v_add_f64 v[68:69], v[10:11], v[14:15]
	v_add_f64 v[60:61], v[60:61], v[8:9]
	s_delay_alu instid0(VALU_DEP_2) | instskip(SKIP_2) | instid1(VALU_DEP_2)
	v_fma_f64 v[86:87], v[68:69], -0.5, v[62:63]
	v_add_f64 v[68:69], v[16:17], v[20:21]
	v_add_f64 v[62:63], v[62:63], v[10:11]
	v_fma_f64 v[90:91], v[68:69], -0.5, v[56:57]
	v_add_f64 v[68:69], v[18:19], v[22:23]
	v_add_f64 v[56:57], v[56:57], v[16:17]
	s_delay_alu instid0(VALU_DEP_2) | instskip(SKIP_2) | instid1(VALU_DEP_2)
	v_fma_f64 v[106:107], v[68:69], -0.5, v[58:59]
	v_add_f64 v[68:69], v[24:25], v[28:29]
	v_add_f64 v[58:59], v[58:59], v[18:19]
	v_fma_f64 v[108:109], v[68:69], -0.5, v[52:53]
	v_add_f64 v[68:69], v[26:27], v[30:31]
	s_delay_alu instid0(VALU_DEP_1)
	v_fma_f64 v[110:111], v[68:69], -0.5, v[54:55]
	v_add_f64 v[68:69], v[52:53], v[24:25]
	v_add_f64 v[52:53], v[100:101], v[104:105]
	;; [unrolled: 1-line block ×4, first 2 shown]
	v_fma_f64 v[70:71], v[0:1], s[8:9], v[78:79]
	v_fma_f64 v[78:79], v[0:1], s[2:3], v[78:79]
	v_add_f64 v[0:1], v[125:126], v[129:130]
	v_fma_f64 v[112:113], v[52:53], -0.5, v[48:49]
	v_add_f64 v[48:49], v[98:99], v[94:95]
	v_add_f64 v[52:53], v[102:103], v[96:97]
	s_delay_alu instid0(VALU_DEP_4) | instskip(NEXT) | instid1(VALU_DEP_3)
	v_fma_f64 v[0:1], v[0:1], -0.5, v[40:41]
	v_fma_f64 v[119:120], v[48:49], -0.5, v[44:45]
	v_add_f64 v[48:49], v[92:93], v[84:85]
	v_add_f64 v[44:45], v[64:65], v[4:5]
	v_add_f64 v[4:5], v[10:11], -v[14:15]
	v_fma_f64 v[115:116], v[52:53], -0.5, v[50:51]
	v_add_f64 v[50:51], v[62:63], v[14:15]
	v_add_f64 v[52:53], v[56:57], v[20:21]
	v_add_f64 v[10:11], v[16:17], -v[20:21]
	v_add_f64 v[56:57], v[68:69], v[28:29]
	v_add_f64 v[16:17], v[102:103], -v[96:97]
	;; [unrolled: 2-line block ×3, first 2 shown]
	v_fma_f64 v[68:69], v[2:3], s[2:3], v[76:77]
	v_fma_f64 v[76:77], v[2:3], s[8:9], v[76:77]
	v_add_f64 v[2:3], v[127:128], v[136:137]
	v_add_f64 v[14:15], v[24:25], -v[28:29]
	v_add_f64 v[64:65], v[117:118], v[94:95]
	v_add_nc_u32_e32 v96, 0x4e0, v135
	v_fma_f64 v[123:124], v[48:49], -0.5, v[46:47]
	v_add_f64 v[46:47], v[66:67], v[6:7]
	v_add_f64 v[6:7], v[8:9], -v[12:13]
	v_add_f64 v[8:9], v[18:19], -v[22:23]
	v_add_f64 v[48:49], v[60:61], v[12:13]
	v_add_f64 v[60:61], v[80:81], v[104:105]
	v_add_f64 v[22:23], v[98:99], -v[94:95]
	v_add_f64 v[66:67], v[121:122], v[84:85]
	v_fma_f64 v[80:81], v[4:5], s[2:3], v[82:83]
	v_fma_f64 v[84:85], v[4:5], s[8:9], v[82:83]
	v_add_f64 v[18:19], v[100:101], -v[104:105]
	v_fma_f64 v[99:100], v[10:11], s[2:3], v[106:107]
	v_add_f64 v[4:5], v[40:41], v[125:126]
	v_fma_f64 v[2:3], v[2:3], -0.5, v[42:43]
	ds_store_b128 v160, v[44:47]
	ds_store_b128 v160, v[68:71] offset:1040
	ds_store_b128 v160, v[76:79] offset:2080
	v_fma_f64 v[82:83], v[6:7], s[8:9], v[86:87]
	v_fma_f64 v[86:87], v[6:7], s[2:3], v[86:87]
	;; [unrolled: 1-line block ×4, first 2 shown]
	v_add_f64 v[6:7], v[42:43], v[127:128]
	v_add_f64 v[8:9], v[127:128], -v[136:137]
	v_fma_f64 v[90:91], v[10:11], s[8:9], v[106:107]
	v_add_f64 v[10:11], v[125:126], -v[129:130]
	v_add_f64 v[12:13], v[26:27], -v[30:31]
	v_fma_f64 v[103:104], v[14:15], s[8:9], v[110:111]
	v_add_f64 v[40:41], v[4:5], v[129:130]
	v_add_f64 v[4:5], v[36:37], v[140:141]
	v_fma_f64 v[117:118], v[20:21], s[2:3], v[119:120]
	v_fma_f64 v[121:122], v[20:21], s[8:9], v[119:120]
	;; [unrolled: 1-line block ×4, first 2 shown]
	v_add_nc_u32_e32 v95, 0x750, v135
	v_add_nc_u32_e32 v94, 0x9c0, v135
	v_add_f64 v[42:43], v[6:7], v[136:137]
	v_fma_f64 v[125:126], v[8:9], s[2:3], v[0:1]
	v_fma_f64 v[136:137], v[8:9], s[8:9], v[0:1]
	v_add_f64 v[0:1], v[140:141], v[144:145]
	v_add_f64 v[8:9], v[142:143], -v[146:147]
	v_fma_f64 v[127:128], v[10:11], s[8:9], v[2:3]
	v_fma_f64 v[138:139], v[10:11], s[2:3], v[2:3]
	v_add_f64 v[10:11], v[140:141], -v[144:145]
	v_fma_f64 v[101:102], v[12:13], s[2:3], v[108:109]
	v_fma_f64 v[105:106], v[12:13], s[8:9], v[108:109]
	;; [unrolled: 1-line block ×7, first 2 shown]
	v_add_f64 v[2:3], v[142:143], v[146:147]
	v_add_f64 v[6:7], v[38:39], v[142:143]
	v_fma_f64 v[0:1], v[0:1], -0.5, v[36:37]
	v_add_f64 v[36:37], v[4:5], v[144:145]
	s_delay_alu instid0(VALU_DEP_4) | instskip(NEXT) | instid1(VALU_DEP_4)
	v_fma_f64 v[2:3], v[2:3], -0.5, v[38:39]
	v_add_f64 v[38:39], v[6:7], v[146:147]
	s_delay_alu instid0(VALU_DEP_4)
	v_fma_f64 v[140:141], v[8:9], s[2:3], v[0:1]
	v_fma_f64 v[144:145], v[8:9], s[8:9], v[0:1]
	scratch_load_b32 v0, off, off offset:904 ; 4-byte Folded Reload
	s_waitcnt vmcnt(0)
	ds_store_b128 v0, v[48:51]
	ds_store_b128 v0, v[80:83] offset:1040
	ds_store_b128 v0, v[84:87] offset:2080
	;; [unrolled: 1-line block ×5, first 2 shown]
	scratch_load_b32 v0, off, off offset:884 ; 4-byte Folded Reload
	v_fma_f64 v[142:143], v[10:11], s[8:9], v[2:3]
	v_fma_f64 v[146:147], v[10:11], s[2:3], v[2:3]
	s_waitcnt vmcnt(0)
	ds_store_b128 v0, v[56:59]
	ds_store_b128 v0, v[101:104] offset:1040
	ds_store_b128 v0, v[105:108] offset:2080
	scratch_load_b32 v0, off, off offset:864 ; 4-byte Folded Reload
	s_waitcnt vmcnt(0)
	ds_store_b128 v0, v[60:63] offset:6240
	ds_store_b128 v0, v[109:112] offset:7280
	;; [unrolled: 1-line block ×3, first 2 shown]
	scratch_load_b32 v0, off, off offset:844 ; 4-byte Folded Reload
	s_waitcnt vmcnt(0)
	ds_store_b128 v0, v[64:67] offset:9360
	ds_store_b128 v0, v[117:120] offset:10400
	;; [unrolled: 1-line block ×3, first 2 shown]
	scratch_load_b32 v0, off, off offset:808 ; 4-byte Folded Reload
	s_waitcnt vmcnt(0)
	ds_store_b128 v0, v[40:43]
	ds_store_b128 v0, v[125:128] offset:1040
	ds_store_b128 v0, v[136:139] offset:2080
	scratch_load_b32 v0, off, off offset:804 ; 4-byte Folded Reload
	s_waitcnt vmcnt(0)
	ds_store_b128 v0, v[36:39] offset:12480
	ds_store_b128 v0, v[140:143] offset:13520
	;; [unrolled: 1-line block ×3, first 2 shown]
	s_and_saveexec_b32 s1, s0
	s_cbranch_execz .LBB0_21
; %bb.20:
	s_clause 0x2
	scratch_load_b128 v[8:11], off, off offset:1216
	scratch_load_b128 v[12:15], off, off offset:1232
	;; [unrolled: 1-line block ×3, first 2 shown]
	s_waitcnt vmcnt(2)
	v_mul_f64 v[4:5], v[10:11], v[74:75]
	s_waitcnt vmcnt(0)
	v_mul_f64 v[6:7], v[14:15], v[18:19]
	v_mul_f64 v[0:1], v[10:11], v[72:73]
	;; [unrolled: 1-line block ×3, first 2 shown]
	s_delay_alu instid0(VALU_DEP_4) | instskip(NEXT) | instid1(VALU_DEP_4)
	v_fma_f64 v[4:5], v[8:9], v[72:73], v[4:5]
	v_fma_f64 v[6:7], v[12:13], v[16:17], v[6:7]
	s_delay_alu instid0(VALU_DEP_4) | instskip(NEXT) | instid1(VALU_DEP_4)
	v_fma_f64 v[0:1], v[8:9], v[74:75], -v[0:1]
	v_fma_f64 v[2:3], v[12:13], v[18:19], -v[2:3]
	s_delay_alu instid0(VALU_DEP_3) | instskip(NEXT) | instid1(VALU_DEP_3)
	v_add_f64 v[10:11], v[4:5], v[6:7]
	v_add_f64 v[14:15], v[34:35], v[0:1]
	s_delay_alu instid0(VALU_DEP_3)
	v_add_f64 v[8:9], v[0:1], v[2:3]
	v_add_f64 v[0:1], v[0:1], -v[2:3]
	v_add_f64 v[12:13], v[4:5], -v[6:7]
	v_add_f64 v[4:5], v[32:33], v[4:5]
	v_fma_f64 v[10:11], v[10:11], -0.5, v[32:33]
	v_fma_f64 v[8:9], v[8:9], -0.5, v[34:35]
	v_add_f64 v[34:35], v[14:15], v[2:3]
	s_delay_alu instid0(VALU_DEP_4) | instskip(NEXT) | instid1(VALU_DEP_4)
	v_add_f64 v[32:33], v[4:5], v[6:7]
	v_fma_f64 v[40:41], v[0:1], s[2:3], v[10:11]
	v_fma_f64 v[36:37], v[0:1], s[8:9], v[10:11]
	s_clause 0x1
	scratch_load_b32 v0, off, off offset:16
	scratch_load_b32 v1, off, off offset:704
	v_fma_f64 v[42:43], v[12:13], s[8:9], v[8:9]
	v_fma_f64 v[38:39], v[12:13], s[2:3], v[8:9]
	s_waitcnt vmcnt(0)
	v_lshl_add_u32 v0, v1, 4, v0
	ds_store_b128 v0, v[32:35] offset:12480
	ds_store_b128 v0, v[40:43] offset:13520
	;; [unrolled: 1-line block ×3, first 2 shown]
.LBB0_21:
	s_or_b32 exec_lo, exec_lo, s1
	s_waitcnt lgkmcnt(0)
	s_barrier
	buffer_gl0_inv
	s_clause 0x1
	scratch_load_b128 v[2:5], off, off offset:740
	scratch_load_b128 v[24:27], off, off offset:1196
	ds_load_b128 v[32:35], v160 offset:3120
	ds_load_b128 v[40:43], v160 offset:4368
	s_mov_b32 s8, 0x134454ff
	s_mov_b32 s9, 0xbfee6f0e
	;; [unrolled: 1-line block ×10, first 2 shown]
	ds_load_b128 v[56:59], v160 offset:7488
	ds_load_b128 v[60:63], v160 offset:4992
	s_clause 0x1
	scratch_load_b128 v[20:23], off, off offset:1180
	scratch_load_b128 v[8:11], off, off offset:1116
	s_waitcnt vmcnt(3) lgkmcnt(3)
	v_mul_f64 v[0:1], v[4:5], v[34:35]
	s_delay_alu instid0(VALU_DEP_1) | instskip(SKIP_1) | instid1(VALU_DEP_1)
	v_fma_f64 v[80:81], v[2:3], v[32:33], v[0:1]
	v_mul_f64 v[0:1], v[4:5], v[32:33]
	v_fma_f64 v[78:79], v[2:3], v[34:35], -v[0:1]
	scratch_load_b128 v[2:5], off, off offset:888 ; 16-byte Folded Reload
	ds_load_b128 v[32:35], v160 offset:6240
	s_waitcnt vmcnt(0) lgkmcnt(0)
	v_mul_f64 v[0:1], v[4:5], v[34:35]
	s_delay_alu instid0(VALU_DEP_1) | instskip(SKIP_1) | instid1(VALU_DEP_1)
	v_fma_f64 v[82:83], v[2:3], v[32:33], v[0:1]
	v_mul_f64 v[0:1], v[4:5], v[32:33]
	v_fma_f64 v[84:85], v[2:3], v[34:35], -v[0:1]
	scratch_load_b128 v[2:5], off, off offset:868 ; 16-byte Folded Reload
	ds_load_b128 v[32:35], v160 offset:9360
	s_waitcnt vmcnt(0) lgkmcnt(0)
	v_mul_f64 v[0:1], v[4:5], v[34:35]
	s_delay_alu instid0(VALU_DEP_1) | instskip(SKIP_1) | instid1(VALU_DEP_2)
	v_fma_f64 v[88:89], v[2:3], v[32:33], v[0:1]
	v_mul_f64 v[0:1], v[4:5], v[32:33]
	v_add_f64 v[105:106], v[82:83], -v[88:89]
	s_delay_alu instid0(VALU_DEP_2)
	v_fma_f64 v[86:87], v[2:3], v[34:35], -v[0:1]
	scratch_load_b128 v[2:5], off, off offset:908 ; 16-byte Folded Reload
	ds_load_b128 v[32:35], v160 offset:12480
	v_add_f64 v[101:102], v[84:85], -v[86:87]
	s_waitcnt vmcnt(0) lgkmcnt(0)
	v_mul_f64 v[0:1], v[4:5], v[34:35]
	s_delay_alu instid0(VALU_DEP_1) | instskip(SKIP_1) | instid1(VALU_DEP_2)
	v_fma_f64 v[90:91], v[2:3], v[32:33], v[0:1]
	v_mul_f64 v[0:1], v[4:5], v[32:33]
	v_add_f64 v[103:104], v[80:81], -v[90:91]
	s_delay_alu instid0(VALU_DEP_2)
	v_fma_f64 v[92:93], v[2:3], v[34:35], -v[0:1]
	scratch_load_b128 v[2:5], off, off offset:756 ; 16-byte Folded Reload
	ds_load_b128 v[32:35], v160 offset:3744
	v_add_f64 v[99:100], v[78:79], -v[92:93]
	s_waitcnt vmcnt(0) lgkmcnt(0)
	v_mul_f64 v[0:1], v[4:5], v[34:35]
	s_delay_alu instid0(VALU_DEP_1) | instskip(SKIP_1) | instid1(VALU_DEP_1)
	v_fma_f64 v[38:39], v[2:3], v[32:33], v[0:1]
	v_mul_f64 v[0:1], v[4:5], v[32:33]
	v_fma_f64 v[36:37], v[2:3], v[34:35], -v[0:1]
	scratch_load_b128 v[2:5], off, off offset:788 ; 16-byte Folded Reload
	ds_load_b128 v[32:35], v160 offset:6864
	s_waitcnt vmcnt(0) lgkmcnt(0)
	v_mul_f64 v[0:1], v[4:5], v[34:35]
	s_delay_alu instid0(VALU_DEP_1) | instskip(SKIP_1) | instid1(VALU_DEP_2)
	v_fma_f64 v[44:45], v[2:3], v[32:33], v[0:1]
	v_mul_f64 v[0:1], v[4:5], v[32:33]
	v_add_f64 v[111:112], v[44:45], -v[38:39]
	s_delay_alu instid0(VALU_DEP_2) | instskip(SKIP_4) | instid1(VALU_DEP_1)
	v_fma_f64 v[46:47], v[2:3], v[34:35], -v[0:1]
	scratch_load_b128 v[2:5], off, off offset:848 ; 16-byte Folded Reload
	ds_load_b128 v[32:35], v160 offset:9984
	s_waitcnt vmcnt(0) lgkmcnt(0)
	v_mul_f64 v[0:1], v[4:5], v[34:35]
	v_fma_f64 v[50:51], v[2:3], v[32:33], v[0:1]
	v_mul_f64 v[0:1], v[4:5], v[32:33]
	s_delay_alu instid0(VALU_DEP_2) | instskip(NEXT) | instid1(VALU_DEP_2)
	v_add_f64 v[109:110], v[44:45], -v[50:51]
	v_fma_f64 v[48:49], v[2:3], v[34:35], -v[0:1]
	scratch_load_b128 v[2:5], off, off offset:828 ; 16-byte Folded Reload
	ds_load_b128 v[32:35], v160 offset:13104
	s_waitcnt vmcnt(0) lgkmcnt(0)
	v_mul_f64 v[0:1], v[4:5], v[34:35]
	s_delay_alu instid0(VALU_DEP_1) | instskip(SKIP_1) | instid1(VALU_DEP_2)
	v_fma_f64 v[52:53], v[2:3], v[32:33], v[0:1]
	v_mul_f64 v[0:1], v[4:5], v[32:33]
	v_add_f64 v[107:108], v[38:39], -v[52:53]
	s_delay_alu instid0(VALU_DEP_2) | instskip(SKIP_3) | instid1(VALU_DEP_1)
	v_fma_f64 v[54:55], v[2:3], v[34:35], -v[0:1]
	scratch_load_b128 v[2:5], off, off offset:812 ; 16-byte Folded Reload
	s_waitcnt vmcnt(0)
	v_mul_f64 v[0:1], v[4:5], v[42:43]
	v_fma_f64 v[34:35], v[2:3], v[40:41], v[0:1]
	v_mul_f64 v[0:1], v[4:5], v[40:41]
	s_delay_alu instid0(VALU_DEP_1) | instskip(SKIP_3) | instid1(VALU_DEP_1)
	v_fma_f64 v[32:33], v[2:3], v[42:43], -v[0:1]
	scratch_load_b128 v[2:5], off, off offset:772 ; 16-byte Folded Reload
	s_waitcnt vmcnt(0)
	v_mul_f64 v[0:1], v[4:5], v[58:59]
	v_fma_f64 v[42:43], v[2:3], v[56:57], v[0:1]
	v_mul_f64 v[0:1], v[4:5], v[56:57]
	s_delay_alu instid0(VALU_DEP_2) | instskip(NEXT) | instid1(VALU_DEP_2)
	v_add_f64 v[115:116], v[42:43], -v[34:35]
	v_fma_f64 v[40:41], v[2:3], v[58:59], -v[0:1]
	scratch_load_b128 v[2:5], off, off offset:724 ; 16-byte Folded Reload
	ds_load_b128 v[56:59], v160 offset:10608
	s_waitcnt vmcnt(0) lgkmcnt(0)
	v_mul_f64 v[0:1], v[4:5], v[58:59]
	s_delay_alu instid0(VALU_DEP_1) | instskip(SKIP_1) | instid1(VALU_DEP_2)
	v_fma_f64 v[72:73], v[2:3], v[56:57], v[0:1]
	v_mul_f64 v[0:1], v[4:5], v[56:57]
	v_add_f64 v[113:114], v[42:43], -v[72:73]
	s_delay_alu instid0(VALU_DEP_2) | instskip(SKIP_4) | instid1(VALU_DEP_1)
	v_fma_f64 v[70:71], v[2:3], v[58:59], -v[0:1]
	scratch_load_b128 v[2:5], off, off offset:708 ; 16-byte Folded Reload
	ds_load_b128 v[56:59], v160 offset:13728
	s_waitcnt vmcnt(0) lgkmcnt(0)
	v_mul_f64 v[0:1], v[4:5], v[58:59]
	v_fma_f64 v[74:75], v[2:3], v[56:57], v[0:1]
	v_mul_f64 v[0:1], v[4:5], v[56:57]
	s_delay_alu instid0(VALU_DEP_1) | instskip(SKIP_3) | instid1(VALU_DEP_1)
	v_fma_f64 v[76:77], v[2:3], v[58:59], -v[0:1]
	scratch_load_b128 v[2:5], off, off offset:1100 ; 16-byte Folded Reload
	s_waitcnt vmcnt(0)
	v_mul_f64 v[0:1], v[4:5], v[62:63]
	v_fma_f64 v[58:59], v[2:3], v[60:61], v[0:1]
	v_mul_f64 v[0:1], v[4:5], v[60:61]
	ds_load_b128 v[4:7], v160 offset:8112
	v_fma_f64 v[56:57], v[2:3], v[62:63], -v[0:1]
	s_waitcnt lgkmcnt(0)
	v_mul_f64 v[0:1], v[10:11], v[6:7]
	s_delay_alu instid0(VALU_DEP_1) | instskip(SKIP_1) | instid1(VALU_DEP_1)
	v_fma_f64 v[66:67], v[8:9], v[4:5], v[0:1]
	v_mul_f64 v[0:1], v[10:11], v[4:5]
	v_fma_f64 v[62:63], v[8:9], v[6:7], -v[0:1]
	scratch_load_b128 v[8:11], off, off offset:1132 ; 16-byte Folded Reload
	ds_load_b128 v[4:7], v160 offset:11232
	s_waitcnt vmcnt(0) lgkmcnt(0)
	v_mul_f64 v[0:1], v[10:11], v[6:7]
	s_delay_alu instid0(VALU_DEP_1) | instskip(SKIP_1) | instid1(VALU_DEP_2)
	v_fma_f64 v[64:65], v[8:9], v[4:5], v[0:1]
	v_mul_f64 v[0:1], v[10:11], v[4:5]
	v_add_f64 v[117:118], v[66:67], -v[64:65]
	s_delay_alu instid0(VALU_DEP_2) | instskip(SKIP_4) | instid1(VALU_DEP_1)
	v_fma_f64 v[60:61], v[8:9], v[6:7], -v[0:1]
	scratch_load_b128 v[8:11], off, off offset:1148 ; 16-byte Folded Reload
	ds_load_b128 v[4:7], v160 offset:14352
	s_waitcnt vmcnt(0) lgkmcnt(0)
	v_mul_f64 v[0:1], v[10:11], v[6:7]
	v_fma_f64 v[68:69], v[8:9], v[4:5], v[0:1]
	v_mul_f64 v[0:1], v[10:11], v[4:5]
	scratch_load_b128 v[2:5], off, off offset:1164 ; 16-byte Folded Reload
	v_fma_f64 v[18:19], v[8:9], v[6:7], -v[0:1]
	ds_load_b128 v[8:11], v160 offset:5616
	s_waitcnt vmcnt(0) lgkmcnt(0)
	v_mul_f64 v[0:1], v[4:5], v[10:11]
	s_delay_alu instid0(VALU_DEP_1) | instskip(SKIP_1) | instid1(VALU_DEP_1)
	v_fma_f64 v[6:7], v[2:3], v[8:9], v[0:1]
	v_mul_f64 v[0:1], v[4:5], v[8:9]
	v_fma_f64 v[4:5], v[2:3], v[10:11], -v[0:1]
	ds_load_b128 v[8:11], v160 offset:8736
	v_add_f64 v[2:3], v[80:81], -v[82:83]
	s_waitcnt lgkmcnt(0)
	v_mul_f64 v[0:1], v[22:23], v[10:11]
	s_delay_alu instid0(VALU_DEP_1) | instskip(SKIP_1) | instid1(VALU_DEP_1)
	v_fma_f64 v[14:15], v[20:21], v[8:9], v[0:1]
	v_mul_f64 v[0:1], v[22:23], v[8:9]
	v_fma_f64 v[10:11], v[20:21], v[10:11], -v[0:1]
	ds_load_b128 v[20:23], v160 offset:11856
	s_waitcnt lgkmcnt(0)
	v_mul_f64 v[0:1], v[26:27], v[22:23]
	s_delay_alu instid0(VALU_DEP_1) | instskip(SKIP_1) | instid1(VALU_DEP_2)
	v_fma_f64 v[12:13], v[24:25], v[20:21], v[0:1]
	v_mul_f64 v[0:1], v[26:27], v[20:21]
	v_add_f64 v[121:122], v[14:15], -v[12:13]
	s_delay_alu instid0(VALU_DEP_2) | instskip(SKIP_4) | instid1(VALU_DEP_1)
	v_fma_f64 v[8:9], v[24:25], v[22:23], -v[0:1]
	scratch_load_b128 v[24:27], off, off offset:1084 ; 16-byte Folded Reload
	ds_load_b128 v[20:23], v160 offset:14976
	s_waitcnt vmcnt(0) lgkmcnt(0)
	v_mul_f64 v[0:1], v[26:27], v[22:23]
	v_fma_f64 v[16:17], v[24:25], v[20:21], v[0:1]
	v_mul_f64 v[0:1], v[26:27], v[20:21]
	v_add_f64 v[20:21], v[90:91], -v[88:89]
	s_delay_alu instid0(VALU_DEP_3) | instskip(NEXT) | instid1(VALU_DEP_3)
	v_add_f64 v[123:124], v[6:7], -v[16:17]
	v_fma_f64 v[0:1], v[24:25], v[22:23], -v[0:1]
	s_delay_alu instid0(VALU_DEP_3) | instskip(SKIP_3) | instid1(VALU_DEP_2)
	v_add_f64 v[2:3], v[2:3], v[20:21]
	v_add_f64 v[20:21], v[78:79], -v[84:85]
	v_add_f64 v[22:23], v[92:93], -v[86:87]
	v_add_f64 v[24:25], v[82:83], v[88:89]
	v_add_f64 v[30:31], v[20:21], v[22:23]
	ds_load_b128 v[20:23], v160
	s_waitcnt lgkmcnt(0)
	v_fma_f64 v[28:29], v[24:25], -0.5, v[20:21]
	v_add_f64 v[24:25], v[84:85], v[86:87]
	s_delay_alu instid0(VALU_DEP_1) | instskip(NEXT) | instid1(VALU_DEP_3)
	v_fma_f64 v[97:98], v[24:25], -0.5, v[22:23]
	v_fma_f64 v[24:25], v[99:100], s[8:9], v[28:29]
	v_fma_f64 v[28:29], v[99:100], s[12:13], v[28:29]
	s_delay_alu instid0(VALU_DEP_3) | instskip(NEXT) | instid1(VALU_DEP_3)
	v_fma_f64 v[26:27], v[103:104], s[12:13], v[97:98]
	v_fma_f64 v[24:25], v[101:102], s[0:1], v[24:25]
	;; [unrolled: 1-line block ×3, first 2 shown]
	s_delay_alu instid0(VALU_DEP_4) | instskip(NEXT) | instid1(VALU_DEP_4)
	v_fma_f64 v[28:29], v[101:102], s[2:3], v[28:29]
	v_fma_f64 v[26:27], v[105:106], s[2:3], v[26:27]
	s_delay_alu instid0(VALU_DEP_4) | instskip(NEXT) | instid1(VALU_DEP_4)
	v_fma_f64 v[24:25], v[2:3], s[14:15], v[24:25]
	v_fma_f64 v[97:98], v[105:106], s[0:1], v[97:98]
	s_delay_alu instid0(VALU_DEP_4) | instskip(SKIP_2) | instid1(VALU_DEP_4)
	v_fma_f64 v[28:29], v[2:3], s[14:15], v[28:29]
	v_add_f64 v[2:3], v[80:81], v[90:91]
	v_fma_f64 v[26:27], v[30:31], s[14:15], v[26:27]
	v_fma_f64 v[30:31], v[30:31], s[14:15], v[97:98]
	v_add_f64 v[97:98], v[78:79], v[92:93]
	s_delay_alu instid0(VALU_DEP_4) | instskip(SKIP_2) | instid1(VALU_DEP_4)
	v_fma_f64 v[2:3], v[2:3], -0.5, v[20:21]
	v_add_f64 v[20:21], v[20:21], v[80:81]
	v_add_f64 v[80:81], v[82:83], -v[80:81]
	v_fma_f64 v[97:98], v[97:98], -0.5, v[22:23]
	v_add_f64 v[22:23], v[22:23], v[78:79]
	s_delay_alu instid0(VALU_DEP_4) | instskip(SKIP_2) | instid1(VALU_DEP_4)
	v_add_f64 v[20:21], v[20:21], v[82:83]
	v_add_f64 v[78:79], v[84:85], -v[78:79]
	v_add_f64 v[82:83], v[88:89], -v[90:91]
	v_add_f64 v[22:23], v[22:23], v[84:85]
	s_delay_alu instid0(VALU_DEP_4)
	v_add_f64 v[20:21], v[20:21], v[88:89]
	v_add_f64 v[84:85], v[86:87], -v[92:93]
	v_fma_f64 v[88:89], v[105:106], s[8:9], v[97:98]
	v_add_f64 v[82:83], v[80:81], v[82:83]
	v_add_f64 v[22:23], v[22:23], v[86:87]
	;; [unrolled: 1-line block ×3, first 2 shown]
	v_fma_f64 v[86:87], v[101:102], s[12:13], v[2:3]
	v_fma_f64 v[2:3], v[101:102], s[8:9], v[2:3]
	;; [unrolled: 1-line block ×3, first 2 shown]
	v_add_f64 v[84:85], v[78:79], v[84:85]
	v_fma_f64 v[80:81], v[103:104], s[2:3], v[88:89]
	v_add_f64 v[88:89], v[54:55], -v[48:49]
	v_add_f64 v[105:106], v[46:47], -v[48:49]
	v_add_f64 v[22:23], v[22:23], v[92:93]
	v_fma_f64 v[78:79], v[99:100], s[0:1], v[86:87]
	v_fma_f64 v[2:3], v[99:100], s[2:3], v[2:3]
	;; [unrolled: 1-line block ×3, first 2 shown]
	v_add_f64 v[90:91], v[44:45], v[50:51]
	v_fma_f64 v[80:81], v[84:85], s[14:15], v[80:81]
	v_add_f64 v[103:104], v[36:37], -v[54:55]
	v_fma_f64 v[78:79], v[82:83], s[14:15], v[78:79]
	v_fma_f64 v[82:83], v[82:83], s[14:15], v[2:3]
	;; [unrolled: 1-line block ×3, first 2 shown]
	v_add_f64 v[2:3], v[38:39], -v[44:45]
	v_add_f64 v[86:87], v[52:53], -v[50:51]
	s_delay_alu instid0(VALU_DEP_1) | instskip(SKIP_1) | instid1(VALU_DEP_1)
	v_add_f64 v[2:3], v[2:3], v[86:87]
	v_add_f64 v[86:87], v[36:37], -v[46:47]
	v_add_f64 v[99:100], v[86:87], v[88:89]
	ds_load_b128 v[86:89], v160 offset:624
	s_waitcnt lgkmcnt(0)
	v_fma_f64 v[97:98], v[90:91], -0.5, v[86:87]
	v_add_f64 v[90:91], v[46:47], v[48:49]
	s_delay_alu instid0(VALU_DEP_1) | instskip(NEXT) | instid1(VALU_DEP_3)
	v_fma_f64 v[101:102], v[90:91], -0.5, v[88:89]
	v_fma_f64 v[90:91], v[103:104], s[8:9], v[97:98]
	v_fma_f64 v[97:98], v[103:104], s[12:13], v[97:98]
	s_delay_alu instid0(VALU_DEP_3) | instskip(SKIP_1) | instid1(VALU_DEP_4)
	v_fma_f64 v[92:93], v[107:108], s[12:13], v[101:102]
	v_fma_f64 v[101:102], v[107:108], s[8:9], v[101:102]
	;; [unrolled: 1-line block ×3, first 2 shown]
	s_delay_alu instid0(VALU_DEP_4) | instskip(NEXT) | instid1(VALU_DEP_4)
	v_fma_f64 v[97:98], v[105:106], s[2:3], v[97:98]
	v_fma_f64 v[92:93], v[109:110], s[2:3], v[92:93]
	s_delay_alu instid0(VALU_DEP_4) | instskip(NEXT) | instid1(VALU_DEP_4)
	v_fma_f64 v[101:102], v[109:110], s[0:1], v[101:102]
	v_fma_f64 v[90:91], v[2:3], s[14:15], v[90:91]
	s_delay_alu instid0(VALU_DEP_4) | instskip(SKIP_4) | instid1(VALU_DEP_4)
	v_fma_f64 v[97:98], v[2:3], s[14:15], v[97:98]
	v_add_f64 v[2:3], v[38:39], v[52:53]
	v_fma_f64 v[92:93], v[99:100], s[14:15], v[92:93]
	v_fma_f64 v[99:100], v[99:100], s[14:15], v[101:102]
	v_add_f64 v[101:102], v[36:37], v[54:55]
	v_fma_f64 v[2:3], v[2:3], -0.5, v[86:87]
	v_add_f64 v[86:87], v[86:87], v[38:39]
	s_delay_alu instid0(VALU_DEP_3) | instskip(SKIP_1) | instid1(VALU_DEP_3)
	v_fma_f64 v[101:102], v[101:102], -0.5, v[88:89]
	v_add_f64 v[88:89], v[88:89], v[36:37]
	v_add_f64 v[38:39], v[86:87], v[44:45]
	s_delay_alu instid0(VALU_DEP_2) | instskip(SKIP_1) | instid1(VALU_DEP_3)
	v_add_f64 v[44:45], v[88:89], v[46:47]
	v_add_f64 v[46:47], v[46:47], -v[36:37]
	v_add_f64 v[36:37], v[38:39], v[50:51]
	s_delay_alu instid0(VALU_DEP_3)
	v_add_f64 v[38:39], v[44:45], v[48:49]
	v_add_f64 v[44:45], v[50:51], -v[52:53]
	v_fma_f64 v[50:51], v[105:106], s[12:13], v[2:3]
	v_fma_f64 v[2:3], v[105:106], s[8:9], v[2:3]
	v_add_f64 v[36:37], v[36:37], v[52:53]
	v_add_f64 v[48:49], v[48:49], -v[54:55]
	v_fma_f64 v[52:53], v[109:110], s[8:9], v[101:102]
	v_add_f64 v[38:39], v[38:39], v[54:55]
	v_add_f64 v[86:87], v[111:112], v[44:45]
	v_fma_f64 v[54:55], v[109:110], s[12:13], v[101:102]
	v_fma_f64 v[2:3], v[103:104], s[2:3], v[2:3]
	;; [unrolled: 1-line block ×3, first 2 shown]
	v_add_f64 v[88:89], v[46:47], v[48:49]
	v_fma_f64 v[46:47], v[107:108], s[2:3], v[52:53]
	v_add_f64 v[52:53], v[74:75], -v[72:73]
	v_add_f64 v[111:112], v[34:35], -v[74:75]
	;; [unrolled: 1-line block ×3, first 2 shown]
	v_fma_f64 v[50:51], v[107:108], s[0:1], v[54:55]
	v_fma_f64 v[48:49], v[86:87], s[14:15], v[2:3]
	v_add_f64 v[2:3], v[34:35], -v[42:43]
	v_add_f64 v[54:55], v[76:77], -v[70:71]
	v_fma_f64 v[44:45], v[86:87], s[14:15], v[44:45]
	v_add_f64 v[86:87], v[42:43], v[72:73]
	v_add_f64 v[107:108], v[32:33], -v[76:77]
	v_fma_f64 v[46:47], v[88:89], s[14:15], v[46:47]
	v_fma_f64 v[50:51], v[88:89], s[14:15], v[50:51]
	v_add_f64 v[2:3], v[2:3], v[52:53]
	v_add_f64 v[52:53], v[32:33], -v[40:41]
	s_delay_alu instid0(VALU_DEP_1) | instskip(SKIP_4) | instid1(VALU_DEP_1)
	v_add_f64 v[103:104], v[52:53], v[54:55]
	ds_load_b128 v[52:55], v160 offset:1248
	s_waitcnt lgkmcnt(0)
	v_fma_f64 v[101:102], v[86:87], -0.5, v[52:53]
	v_add_f64 v[86:87], v[40:41], v[70:71]
	v_fma_f64 v[105:106], v[86:87], -0.5, v[54:55]
	s_delay_alu instid0(VALU_DEP_3) | instskip(SKIP_1) | instid1(VALU_DEP_3)
	v_fma_f64 v[86:87], v[107:108], s[8:9], v[101:102]
	v_fma_f64 v[101:102], v[107:108], s[12:13], v[101:102]
	;; [unrolled: 1-line block ×4, first 2 shown]
	s_delay_alu instid0(VALU_DEP_4) | instskip(NEXT) | instid1(VALU_DEP_4)
	v_fma_f64 v[86:87], v[109:110], s[0:1], v[86:87]
	v_fma_f64 v[101:102], v[109:110], s[2:3], v[101:102]
	s_delay_alu instid0(VALU_DEP_4) | instskip(NEXT) | instid1(VALU_DEP_4)
	v_fma_f64 v[88:89], v[113:114], s[2:3], v[88:89]
	v_fma_f64 v[105:106], v[113:114], s[0:1], v[105:106]
	;; [unrolled: 3-line block ×3, first 2 shown]
	v_add_f64 v[2:3], v[34:35], v[74:75]
	v_fma_f64 v[88:89], v[103:104], s[14:15], v[88:89]
	v_fma_f64 v[103:104], v[103:104], s[14:15], v[105:106]
	v_add_f64 v[105:106], v[32:33], v[76:77]
	s_delay_alu instid0(VALU_DEP_4) | instskip(SKIP_1) | instid1(VALU_DEP_3)
	v_fma_f64 v[2:3], v[2:3], -0.5, v[52:53]
	v_add_f64 v[52:53], v[52:53], v[34:35]
	v_fma_f64 v[105:106], v[105:106], -0.5, v[54:55]
	v_add_f64 v[54:55], v[54:55], v[32:33]
	s_delay_alu instid0(VALU_DEP_3) | instskip(SKIP_2) | instid1(VALU_DEP_4)
	v_add_f64 v[34:35], v[52:53], v[42:43]
	v_fma_f64 v[42:43], v[109:110], s[12:13], v[2:3]
	v_fma_f64 v[2:3], v[109:110], s[8:9], v[2:3]
	v_add_f64 v[52:53], v[54:55], v[40:41]
	v_add_f64 v[40:41], v[40:41], -v[32:33]
	v_add_f64 v[32:33], v[34:35], v[72:73]
	v_add_f64 v[54:55], v[70:71], -v[76:77]
	v_fma_f64 v[42:43], v[107:108], s[0:1], v[42:43]
	v_fma_f64 v[2:3], v[107:108], s[2:3], v[2:3]
	v_add_f64 v[34:35], v[52:53], v[70:71]
	v_add_f64 v[52:53], v[72:73], -v[74:75]
	v_fma_f64 v[70:71], v[113:114], s[8:9], v[105:106]
	v_fma_f64 v[72:73], v[113:114], s[12:13], v[105:106]
	v_add_f64 v[54:55], v[40:41], v[54:55]
	v_add_f64 v[32:33], v[32:33], v[74:75]
	;; [unrolled: 1-line block ×3, first 2 shown]
	v_add_f64 v[113:114], v[62:63], -v[60:61]
	v_add_f64 v[34:35], v[34:35], v[76:77]
	v_add_f64 v[52:53], v[115:116], v[52:53]
	v_fma_f64 v[70:71], v[111:112], s[2:3], v[70:71]
	v_fma_f64 v[72:73], v[111:112], s[0:1], v[72:73]
	v_add_f64 v[111:112], v[56:57], -v[18:19]
	v_add_f64 v[115:116], v[58:59], -v[68:69]
	v_fma_f64 v[40:41], v[52:53], s[14:15], v[42:43]
	v_fma_f64 v[42:43], v[54:55], s[14:15], v[70:71]
	;; [unrolled: 1-line block ×3, first 2 shown]
	v_add_f64 v[2:3], v[58:59], -v[66:67]
	v_add_f64 v[70:71], v[68:69], -v[64:65]
	v_fma_f64 v[54:55], v[54:55], s[14:15], v[72:73]
	v_add_f64 v[72:73], v[18:19], -v[60:61]
	s_delay_alu instid0(VALU_DEP_3) | instskip(SKIP_1) | instid1(VALU_DEP_1)
	v_add_f64 v[2:3], v[2:3], v[70:71]
	v_add_f64 v[70:71], v[56:57], -v[62:63]
	v_add_f64 v[107:108], v[70:71], v[72:73]
	ds_load_b128 v[70:73], v160 offset:1872
	s_waitcnt lgkmcnt(0)
	v_fma_f64 v[105:106], v[74:75], -0.5, v[70:71]
	v_add_f64 v[74:75], v[62:63], v[60:61]
	s_delay_alu instid0(VALU_DEP_1) | instskip(NEXT) | instid1(VALU_DEP_3)
	v_fma_f64 v[109:110], v[74:75], -0.5, v[72:73]
	v_fma_f64 v[74:75], v[111:112], s[8:9], v[105:106]
	v_fma_f64 v[105:106], v[111:112], s[12:13], v[105:106]
	s_delay_alu instid0(VALU_DEP_3) | instskip(SKIP_1) | instid1(VALU_DEP_4)
	v_fma_f64 v[76:77], v[115:116], s[12:13], v[109:110]
	v_fma_f64 v[109:110], v[115:116], s[8:9], v[109:110]
	;; [unrolled: 1-line block ×3, first 2 shown]
	s_delay_alu instid0(VALU_DEP_4) | instskip(NEXT) | instid1(VALU_DEP_4)
	v_fma_f64 v[105:106], v[113:114], s[2:3], v[105:106]
	v_fma_f64 v[76:77], v[117:118], s[2:3], v[76:77]
	s_delay_alu instid0(VALU_DEP_4) | instskip(NEXT) | instid1(VALU_DEP_4)
	v_fma_f64 v[109:110], v[117:118], s[0:1], v[109:110]
	v_fma_f64 v[74:75], v[2:3], s[14:15], v[74:75]
	s_delay_alu instid0(VALU_DEP_4) | instskip(SKIP_4) | instid1(VALU_DEP_4)
	v_fma_f64 v[105:106], v[2:3], s[14:15], v[105:106]
	v_add_f64 v[2:3], v[58:59], v[68:69]
	v_fma_f64 v[76:77], v[107:108], s[14:15], v[76:77]
	v_fma_f64 v[107:108], v[107:108], s[14:15], v[109:110]
	v_add_f64 v[109:110], v[56:57], v[18:19]
	v_fma_f64 v[2:3], v[2:3], -0.5, v[70:71]
	v_add_f64 v[70:71], v[70:71], v[58:59]
	s_delay_alu instid0(VALU_DEP_3) | instskip(SKIP_1) | instid1(VALU_DEP_4)
	v_fma_f64 v[109:110], v[109:110], -0.5, v[72:73]
	v_add_f64 v[72:73], v[72:73], v[56:57]
	v_fma_f64 v[119:120], v[113:114], s[12:13], v[2:3]
	s_delay_alu instid0(VALU_DEP_4)
	v_add_f64 v[70:71], v[70:71], v[66:67]
	v_add_f64 v[66:67], v[66:67], -v[58:59]
	v_fma_f64 v[2:3], v[113:114], s[8:9], v[2:3]
	v_add_f64 v[58:59], v[72:73], v[62:63]
	v_add_f64 v[62:63], v[62:63], -v[56:57]
	v_add_f64 v[56:57], v[70:71], v[64:65]
	v_add_f64 v[64:65], v[64:65], -v[68:69]
	v_fma_f64 v[2:3], v[111:112], s[2:3], v[2:3]
	v_add_f64 v[72:73], v[6:7], v[16:17]
	v_add_f64 v[58:59], v[58:59], v[60:61]
	v_add_f64 v[56:57], v[56:57], v[68:69]
	v_fma_f64 v[68:69], v[117:118], s[12:13], v[109:110]
	v_add_f64 v[64:65], v[66:67], v[64:65]
	v_fma_f64 v[66:67], v[111:112], s[0:1], v[119:120]
	v_add_f64 v[119:120], v[4:5], -v[0:1]
	v_add_f64 v[58:59], v[58:59], v[18:19]
	v_add_f64 v[18:19], v[60:61], -v[18:19]
	v_fma_f64 v[60:61], v[117:118], s[8:9], v[109:110]
	v_fma_f64 v[68:69], v[115:116], s[0:1], v[68:69]
	v_add_f64 v[109:110], v[4:5], v[0:1]
	v_add_f64 v[117:118], v[10:11], -v[8:9]
	v_add_f64 v[18:19], v[62:63], v[18:19]
	v_fma_f64 v[62:63], v[115:116], s[2:3], v[60:61]
	v_fma_f64 v[60:61], v[64:65], s[14:15], v[66:67]
	;; [unrolled: 1-line block ×3, first 2 shown]
	v_add_f64 v[2:3], v[14:15], -v[6:7]
	v_fma_f64 v[66:67], v[18:19], s[14:15], v[68:69]
	v_fma_f64 v[62:63], v[18:19], s[14:15], v[62:63]
	v_add_f64 v[18:19], v[12:13], -v[16:17]
	v_add_f64 v[68:69], v[8:9], -v[0:1]
	s_delay_alu instid0(VALU_DEP_2) | instskip(SKIP_1) | instid1(VALU_DEP_1)
	v_add_f64 v[2:3], v[2:3], v[18:19]
	v_add_f64 v[18:19], v[10:11], -v[4:5]
	v_add_f64 v[18:19], v[18:19], v[68:69]
	ds_load_b128 v[68:71], v160 offset:2496
	s_waitcnt lgkmcnt(0)
	v_fma_f64 v[72:73], v[72:73], -0.5, v[68:69]
	v_fma_f64 v[113:114], v[109:110], -0.5, v[70:71]
	s_delay_alu instid0(VALU_DEP_2) | instskip(NEXT) | instid1(VALU_DEP_2)
	v_fma_f64 v[109:110], v[117:118], s[12:13], v[72:73]
	v_fma_f64 v[111:112], v[121:122], s[8:9], v[113:114]
	;; [unrolled: 1-line block ×4, first 2 shown]
	s_delay_alu instid0(VALU_DEP_4) | instskip(NEXT) | instid1(VALU_DEP_4)
	v_fma_f64 v[109:110], v[119:120], s[0:1], v[109:110]
	v_fma_f64 v[111:112], v[123:124], s[2:3], v[111:112]
	s_delay_alu instid0(VALU_DEP_4) | instskip(NEXT) | instid1(VALU_DEP_4)
	v_fma_f64 v[72:73], v[119:120], s[2:3], v[72:73]
	v_fma_f64 v[115:116], v[123:124], s[0:1], v[113:114]
	;; [unrolled: 3-line block ×4, first 2 shown]
	v_add_f64 v[2:3], v[14:15], v[12:13]
	v_add_f64 v[18:19], v[10:11], v[8:9]
	s_delay_alu instid0(VALU_DEP_2) | instskip(NEXT) | instid1(VALU_DEP_2)
	v_fma_f64 v[2:3], v[2:3], -0.5, v[68:69]
	v_fma_f64 v[18:19], v[18:19], -0.5, v[70:71]
	v_add_f64 v[68:69], v[68:69], v[6:7]
	v_add_f64 v[70:71], v[70:71], v[4:5]
	v_add_f64 v[6:7], v[6:7], -v[14:15]
	v_fma_f64 v[72:73], v[119:120], s[12:13], v[2:3]
	s_delay_alu instid0(VALU_DEP_4) | instskip(SKIP_3) | instid1(VALU_DEP_4)
	v_add_f64 v[68:69], v[68:69], v[14:15]
	v_fma_f64 v[14:15], v[119:120], s[8:9], v[2:3]
	v_add_f64 v[2:3], v[70:71], v[10:11]
	v_add_f64 v[10:11], v[4:5], -v[10:11]
	v_add_f64 v[4:5], v[68:69], v[12:13]
	v_add_f64 v[12:13], v[16:17], -v[12:13]
	s_delay_alu instid0(VALU_DEP_4) | instskip(NEXT) | instid1(VALU_DEP_3)
	v_add_f64 v[68:69], v[2:3], v[8:9]
	v_add_f64 v[2:3], v[4:5], v[16:17]
	v_fma_f64 v[16:17], v[123:124], s[8:9], v[18:19]
	s_delay_alu instid0(VALU_DEP_3)
	v_add_f64 v[4:5], v[68:69], v[0:1]
	v_add_f64 v[0:1], v[0:1], -v[8:9]
	v_fma_f64 v[8:9], v[123:124], s[12:13], v[18:19]
	v_add_f64 v[12:13], v[6:7], v[12:13]
	v_fma_f64 v[6:7], v[117:118], s[0:1], v[14:15]
	v_fma_f64 v[14:15], v[117:118], s[2:3], v[72:73]
	;; [unrolled: 1-line block ×3, first 2 shown]
	s_mul_i32 s1, s5, 0x4b
	v_add_f64 v[0:1], v[10:11], v[0:1]
	v_fma_f64 v[8:9], v[121:122], s[2:3], v[8:9]
	s_mov_b32 s2, 0xaa677344
	v_fma_f64 v[6:7], v[12:13], s[14:15], v[6:7]
	v_fma_f64 v[10:11], v[12:13], s[14:15], v[14:15]
	s_mov_b32 s3, 0x3f50cdd9
	s_delay_alu instid0(VALU_DEP_4) | instskip(NEXT) | instid1(VALU_DEP_4)
	v_fma_f64 v[12:13], v[0:1], s[14:15], v[16:17]
	v_fma_f64 v[8:9], v[0:1], s[14:15], v[8:9]
	ds_store_b128 v160, v[20:23]
	ds_store_b128 v160, v[36:39] offset:624
	ds_store_b128 v160, v[78:81] offset:6240
	;; [unrolled: 1-line block ×24, first 2 shown]
	s_waitcnt lgkmcnt(0)
	s_barrier
	buffer_gl0_inv
	ds_load_b128 v[0:3], v160
	ds_load_b128 v[4:7], v160 offset:1200
	s_clause 0x1
	scratch_load_b128 v[46:49], off, off offset:92
	scratch_load_b128 v[50:53], off, off offset:108
	ds_load_b128 v[8:11], v160 offset:2400
	ds_load_b128 v[12:15], v160 offset:3600
	;; [unrolled: 1-line block ×3, first 2 shown]
	s_clause 0x3
	scratch_load_b128 v[85:88], off, off offset:188
	scratch_load_b128 v[78:81], off, off offset:172
	;; [unrolled: 1-line block ×4, first 2 shown]
	ds_load_b128 v[20:23], v160 offset:6000
	ds_load_b128 v[24:27], v160 offset:7200
	s_clause 0x1
	scratch_load_b128 v[91:94], off, off offset:204
	scratch_load_b128 v[97:100], off, off offset:236
	s_waitcnt vmcnt(7) lgkmcnt(6)
	v_mul_f64 v[28:29], v[48:49], v[2:3]
	v_mul_f64 v[30:31], v[48:49], v[0:1]
	s_waitcnt vmcnt(6) lgkmcnt(5)
	v_mul_f64 v[32:33], v[52:53], v[6:7]
	v_mul_f64 v[34:35], v[52:53], v[4:5]
	;; [unrolled: 3-line block ×3, first 2 shown]
	scratch_load_b128 v[81:84], off, off offset:124 ; 16-byte Folded Reload
	v_mul_f64 v[52:53], v[87:88], v[18:19]
	v_mul_f64 v[54:55], v[87:88], v[16:17]
	scratch_load_b128 v[87:90], off, off offset:156 ; 16-byte Folded Reload
	s_waitcnt vmcnt(4)
	v_mul_f64 v[40:41], v[76:77], v[14:15]
	v_mul_f64 v[36:37], v[72:73], v[10:11]
	;; [unrolled: 1-line block ×4, first 2 shown]
	v_fma_f64 v[44:45], v[46:47], v[0:1], v[28:29]
	scratch_load_b64 v[0:1], off, off offset:52 ; 8-byte Folded Reload
	v_fma_f64 v[46:47], v[46:47], v[2:3], -v[30:31]
	scratch_load_b64 v[2:3], off, off       ; 8-byte Folded Reload
	v_fma_f64 v[48:49], v[50:51], v[4:5], v[32:33]
	v_fma_f64 v[50:51], v[50:51], v[6:7], -v[34:35]
	v_fma_f64 v[20:21], v[78:79], v[20:21], v[58:59]
	v_fma_f64 v[16:17], v[85:86], v[16:17], v[52:53]
	v_fma_f64 v[18:19], v[85:86], v[18:19], -v[54:55]
	v_fma_f64 v[22:23], v[78:79], v[22:23], -v[60:61]
	v_fma_f64 v[72:73], v[74:75], v[12:13], v[40:41]
	v_fma_f64 v[68:69], v[70:71], v[8:9], v[36:37]
	v_fma_f64 v[70:71], v[70:71], v[10:11], -v[38:39]
	v_fma_f64 v[74:75], v[74:75], v[14:15], -v[42:43]
	ds_load_b128 v[8:11], v160 offset:10800
	ds_load_b128 v[12:15], v160 offset:13200
	;; [unrolled: 1-line block ×4, first 2 shown]
	v_mul_f64 v[34:35], v[46:47], s[2:3]
	v_mul_f64 v[40:41], v[48:49], s[2:3]
	;; [unrolled: 1-line block ×3, first 2 shown]
	s_waitcnt vmcnt(2) lgkmcnt(0)
	v_mul_f64 v[50:51], v[89:90], v[6:7]
	v_mul_f64 v[52:53], v[89:90], v[4:5]
	s_waitcnt vmcnt(1)
	v_mov_b32_e32 v1, v0
	s_waitcnt vmcnt(0)
	v_mov_b32_e32 v33, v2
	s_delay_alu instid0(VALU_DEP_2) | instskip(NEXT) | instid1(VALU_DEP_2)
	v_mad_u64_u32 v[56:57], null, s6, v1, 0
	v_mad_u64_u32 v[62:63], null, s4, v33, 0
	s_mul_hi_u32 s6, s4, 0x4b
	s_delay_alu instid0(VALU_DEP_2) | instskip(NEXT) | instid1(VALU_DEP_2)
	v_mov_b32_e32 v0, v57
	v_mov_b32_e32 v32, v63
	s_delay_alu instid0(VALU_DEP_2)
	v_mad_u64_u32 v[28:29], null, s7, v1, v[0:1]
	ds_load_b128 v[0:3], v160 offset:8400
	v_mad_u64_u32 v[76:77], null, s5, v33, v[32:33]
	v_mul_f64 v[32:33], v[44:45], s[2:3]
	s_add_i32 s7, s6, s1
	s_mul_i32 s6, s4, 0x4b
	v_mov_b32_e32 v57, v28
	ds_load_b128 v[28:31], v160 offset:12000
	s_lshl_b64 s[6:7], s[6:7], 4
	v_mov_b32_e32 v63, v76
	v_lshlrev_b64 v[44:45], 4, v[56:57]
	s_delay_alu instid0(VALU_DEP_2) | instskip(NEXT) | instid1(VALU_DEP_2)
	v_lshlrev_b64 v[62:63], 4, v[62:63]
	v_add_co_u32 v44, s0, s10, v44
	s_delay_alu instid0(VALU_DEP_1)
	v_add_co_ci_u32_e64 v45, s0, s11, v45, s0
	s_waitcnt lgkmcnt(1)
	v_mul_f64 v[46:47], v[83:84], v[2:3]
	v_mul_f64 v[48:49], v[83:84], v[0:1]
	scratch_load_b128 v[83:86], off, off offset:140 ; 16-byte Folded Reload
	v_mul_f64 v[64:65], v[93:94], v[26:27]
	v_mul_f64 v[66:67], v[93:94], v[24:25]
	scratch_load_b128 v[93:96], off, off offset:220 ; 16-byte Folded Reload
	s_waitcnt lgkmcnt(0)
	v_mul_f64 v[58:59], v[99:100], v[30:31]
	v_mul_f64 v[60:61], v[99:100], v[28:29]
	v_add_co_u32 v44, s0, v44, v62
	s_delay_alu instid0(VALU_DEP_1) | instskip(NEXT) | instid1(VALU_DEP_2)
	v_add_co_ci_u32_e64 v45, s0, v45, v63, s0
	v_add_co_u32 v62, s0, v44, s6
	s_delay_alu instid0(VALU_DEP_1)
	v_add_co_ci_u32_e64 v63, s0, s7, v45, s0
	v_fma_f64 v[24:25], v[91:92], v[24:25], v[64:65]
	v_fma_f64 v[26:27], v[91:92], v[26:27], -v[66:67]
	scratch_load_b128 v[89:92], off, off offset:252 ; 16-byte Folded Reload
	s_clause 0x1
	global_store_b128 v[44:45], v[32:35], off
	global_store_b128 v[62:63], v[40:43], off
	v_fma_f64 v[32:33], v[81:82], v[0:1], v[46:47]
	v_fma_f64 v[34:35], v[81:82], v[2:3], -v[48:49]
	v_fma_f64 v[40:41], v[87:88], v[4:5], v[50:51]
	v_fma_f64 v[42:43], v[87:88], v[6:7], -v[52:53]
	;; [unrolled: 2-line block ×3, first 2 shown]
	v_mul_f64 v[0:1], v[68:69], s[2:3]
	v_mul_f64 v[2:3], v[70:71], s[2:3]
	;; [unrolled: 1-line block ×4, first 2 shown]
	v_add_co_u32 v60, s0, v62, s6
	s_delay_alu instid0(VALU_DEP_1) | instskip(NEXT) | instid1(VALU_DEP_2)
	v_add_co_ci_u32_e64 v61, s0, s7, v63, s0
	v_add_co_u32 v62, s0, v60, s6
	s_delay_alu instid0(VALU_DEP_1)
	v_add_co_ci_u32_e64 v63, s0, s7, v61, s0
	s_clause 0x1
	global_store_b128 v[60:61], v[0:3], off
	global_store_b128 v[62:63], v[4:7], off
	s_waitcnt vmcnt(2)
	v_mul_f64 v[54:55], v[85:86], v[10:11]
	v_mul_f64 v[56:57], v[85:86], v[8:9]
	s_waitcnt vmcnt(1)
	v_mul_f64 v[77:78], v[95:96], v[14:15]
	v_mul_f64 v[64:65], v[95:96], v[12:13]
	s_delay_alu instid0(VALU_DEP_4) | instskip(NEXT) | instid1(VALU_DEP_4)
	v_fma_f64 v[44:45], v[83:84], v[8:9], v[54:55]
	v_fma_f64 v[46:47], v[83:84], v[10:11], -v[56:57]
	v_mul_f64 v[8:9], v[16:17], s[2:3]
	s_waitcnt vmcnt(0)
	v_mul_f64 v[66:67], v[91:92], v[38:39]
	v_mul_f64 v[79:80], v[91:92], v[36:37]
	v_fma_f64 v[52:53], v[93:94], v[12:13], v[77:78]
	v_fma_f64 v[54:55], v[93:94], v[14:15], -v[64:65]
	v_mul_f64 v[10:11], v[18:19], s[2:3]
	v_add_co_u32 v64, s0, v62, s6
	s_delay_alu instid0(VALU_DEP_1)
	v_add_co_ci_u32_e64 v65, s0, s7, v63, s0
	v_mul_f64 v[12:13], v[20:21], s[2:3]
	v_mul_f64 v[14:15], v[22:23], s[2:3]
	;; [unrolled: 1-line block ×12, first 2 shown]
	v_fma_f64 v[56:57], v[89:90], v[36:37], v[66:67]
	v_fma_f64 v[58:59], v[89:90], v[38:39], -v[79:80]
	v_add_co_u32 v66, s0, v64, s6
	s_delay_alu instid0(VALU_DEP_1) | instskip(SKIP_1) | instid1(VALU_DEP_3)
	v_add_co_ci_u32_e64 v67, s0, s7, v65, s0
	v_mul_f64 v[36:37], v[52:53], s[2:3]
	v_add_co_u32 v44, s0, v66, s6
	v_mul_f64 v[38:39], v[54:55], s[2:3]
	s_delay_alu instid0(VALU_DEP_4) | instskip(NEXT) | instid1(VALU_DEP_3)
	v_add_co_ci_u32_e64 v45, s0, s7, v67, s0
	v_add_co_u32 v0, s0, v44, s6
	global_store_b128 v[64:65], v[8:11], off
	v_add_co_ci_u32_e64 v1, s0, s7, v45, s0
	v_add_co_u32 v2, s0, v0, s6
	global_store_b128 v[66:67], v[12:15], off
	;; [unrolled: 3-line block ×4, first 2 shown]
	v_add_co_ci_u32_e64 v7, s0, s7, v5, s0
	v_add_co_u32 v8, s0, v6, s6
	s_delay_alu instid0(VALU_DEP_1) | instskip(NEXT) | instid1(VALU_DEP_2)
	v_add_co_ci_u32_e64 v9, s0, s7, v7, s0
	v_add_co_u32 v0, s0, v8, s6
	v_mul_f64 v[40:41], v[56:57], s[2:3]
	v_mul_f64 v[42:43], v[58:59], s[2:3]
	s_delay_alu instid0(VALU_DEP_4)
	v_add_co_ci_u32_e64 v1, s0, s7, v9, s0
	global_store_b128 v[2:3], v[24:27], off
	global_store_b128 v[4:5], v[28:31], off
	;; [unrolled: 1-line block ×5, first 2 shown]
	s_and_b32 exec_lo, exec_lo, vcc_lo
	s_cbranch_execz .LBB0_23
; %bb.22:
	global_load_b128 v[2:5], v[132:133], off offset:624
	ds_load_b128 v[6:9], v160 offset:624
	ds_load_b128 v[10:13], v160 offset:1824
	s_mul_i32 s0, s5, 0xffffca30
	s_delay_alu instid0(SALU_CYCLE_1) | instskip(SKIP_3) | instid1(VALU_DEP_2)
	s_sub_i32 s0, s0, s4
	s_waitcnt vmcnt(0) lgkmcnt(1)
	v_mul_f64 v[14:15], v[8:9], v[4:5]
	v_mul_f64 v[4:5], v[6:7], v[4:5]
	v_fma_f64 v[6:7], v[6:7], v[2:3], v[14:15]
	s_delay_alu instid0(VALU_DEP_2) | instskip(NEXT) | instid1(VALU_DEP_2)
	v_fma_f64 v[4:5], v[2:3], v[8:9], -v[4:5]
	v_mul_f64 v[2:3], v[6:7], s[2:3]
	s_delay_alu instid0(VALU_DEP_2) | instskip(SKIP_1) | instid1(VALU_DEP_1)
	v_mul_f64 v[4:5], v[4:5], s[2:3]
	v_mad_u64_u32 v[6:7], null, 0xffffca30, s4, v[0:1]
	v_add_nc_u32_e32 v7, s0, v7
	global_store_b128 v[6:7], v[2:5], off
	global_load_b128 v[0:3], v[132:133], off offset:1824
	s_waitcnt vmcnt(0) lgkmcnt(0)
	v_mul_f64 v[4:5], v[12:13], v[2:3]
	v_mul_f64 v[2:3], v[10:11], v[2:3]
	s_delay_alu instid0(VALU_DEP_2) | instskip(NEXT) | instid1(VALU_DEP_2)
	v_fma_f64 v[4:5], v[10:11], v[0:1], v[4:5]
	v_fma_f64 v[2:3], v[0:1], v[12:13], -v[2:3]
	v_add_co_u32 v12, vcc_lo, v6, s6
	v_add_co_ci_u32_e32 v13, vcc_lo, s7, v7, vcc_lo
	s_delay_alu instid0(VALU_DEP_4) | instskip(NEXT) | instid1(VALU_DEP_4)
	v_mul_f64 v[0:1], v[4:5], s[2:3]
	v_mul_f64 v[2:3], v[2:3], s[2:3]
	global_store_b128 v[12:13], v[0:3], off
	global_load_b128 v[0:3], v[132:133], off offset:3024
	ds_load_b128 v[4:7], v160 offset:3024
	ds_load_b128 v[8:11], v160 offset:4224
	scratch_load_b64 v[16:17], off, off offset:44 ; 8-byte Folded Reload
	s_waitcnt vmcnt(1) lgkmcnt(1)
	v_mul_f64 v[14:15], v[6:7], v[2:3]
	v_mul_f64 v[2:3], v[4:5], v[2:3]
	s_delay_alu instid0(VALU_DEP_2) | instskip(NEXT) | instid1(VALU_DEP_2)
	v_fma_f64 v[4:5], v[4:5], v[0:1], v[14:15]
	v_fma_f64 v[2:3], v[0:1], v[6:7], -v[2:3]
	s_delay_alu instid0(VALU_DEP_2) | instskip(NEXT) | instid1(VALU_DEP_2)
	v_mul_f64 v[0:1], v[4:5], s[2:3]
	v_mul_f64 v[2:3], v[2:3], s[2:3]
	v_add_co_u32 v4, vcc_lo, v12, s6
	v_add_co_ci_u32_e32 v5, vcc_lo, s7, v13, vcc_lo
	s_delay_alu instid0(VALU_DEP_2) | instskip(NEXT) | instid1(VALU_DEP_2)
	v_add_co_u32 v12, vcc_lo, v4, s6
	v_add_co_ci_u32_e32 v13, vcc_lo, s7, v5, vcc_lo
	global_store_b128 v[4:5], v[0:3], off
	s_waitcnt vmcnt(0)
	global_load_b128 v[0:3], v[16:17], off offset:128
	s_waitcnt vmcnt(0) lgkmcnt(0)
	v_mul_f64 v[6:7], v[10:11], v[2:3]
	v_mul_f64 v[2:3], v[8:9], v[2:3]
	s_delay_alu instid0(VALU_DEP_2) | instskip(NEXT) | instid1(VALU_DEP_2)
	v_fma_f64 v[6:7], v[8:9], v[0:1], v[6:7]
	v_fma_f64 v[2:3], v[0:1], v[10:11], -v[2:3]
	s_delay_alu instid0(VALU_DEP_2) | instskip(NEXT) | instid1(VALU_DEP_2)
	v_mul_f64 v[0:1], v[6:7], s[2:3]
	v_mul_f64 v[2:3], v[2:3], s[2:3]
	global_store_b128 v[12:13], v[0:3], off
	global_load_b128 v[0:3], v[16:17], off offset:1328
	ds_load_b128 v[4:7], v160 offset:5424
	ds_load_b128 v[8:11], v160 offset:6624
	s_waitcnt vmcnt(0) lgkmcnt(1)
	v_mul_f64 v[14:15], v[6:7], v[2:3]
	v_mul_f64 v[2:3], v[4:5], v[2:3]
	s_delay_alu instid0(VALU_DEP_2) | instskip(NEXT) | instid1(VALU_DEP_2)
	v_fma_f64 v[4:5], v[4:5], v[0:1], v[14:15]
	v_fma_f64 v[2:3], v[0:1], v[6:7], -v[2:3]
	s_delay_alu instid0(VALU_DEP_2) | instskip(NEXT) | instid1(VALU_DEP_2)
	v_mul_f64 v[0:1], v[4:5], s[2:3]
	v_mul_f64 v[2:3], v[2:3], s[2:3]
	v_add_co_u32 v4, vcc_lo, v12, s6
	v_add_co_ci_u32_e32 v5, vcc_lo, s7, v13, vcc_lo
	s_delay_alu instid0(VALU_DEP_2) | instskip(NEXT) | instid1(VALU_DEP_2)
	v_add_co_u32 v12, vcc_lo, v4, s6
	v_add_co_ci_u32_e32 v13, vcc_lo, s7, v5, vcc_lo
	global_store_b128 v[4:5], v[0:3], off
	global_load_b128 v[0:3], v[16:17], off offset:2528
	s_waitcnt vmcnt(0) lgkmcnt(0)
	v_mul_f64 v[6:7], v[10:11], v[2:3]
	v_mul_f64 v[2:3], v[8:9], v[2:3]
	s_delay_alu instid0(VALU_DEP_2) | instskip(NEXT) | instid1(VALU_DEP_2)
	v_fma_f64 v[6:7], v[8:9], v[0:1], v[6:7]
	v_fma_f64 v[2:3], v[0:1], v[10:11], -v[2:3]
	s_delay_alu instid0(VALU_DEP_2) | instskip(NEXT) | instid1(VALU_DEP_2)
	v_mul_f64 v[0:1], v[6:7], s[2:3]
	v_mul_f64 v[2:3], v[2:3], s[2:3]
	global_store_b128 v[12:13], v[0:3], off
	global_load_b128 v[0:3], v[16:17], off offset:3728
	ds_load_b128 v[4:7], v160 offset:7824
	ds_load_b128 v[8:11], v160 offset:9024
	scratch_load_b64 v[16:17], off, off offset:36 ; 8-byte Folded Reload
	s_waitcnt vmcnt(1) lgkmcnt(1)
	v_mul_f64 v[14:15], v[6:7], v[2:3]
	v_mul_f64 v[2:3], v[4:5], v[2:3]
	s_delay_alu instid0(VALU_DEP_2) | instskip(NEXT) | instid1(VALU_DEP_2)
	v_fma_f64 v[4:5], v[4:5], v[0:1], v[14:15]
	v_fma_f64 v[2:3], v[0:1], v[6:7], -v[2:3]
	s_delay_alu instid0(VALU_DEP_2) | instskip(NEXT) | instid1(VALU_DEP_2)
	v_mul_f64 v[0:1], v[4:5], s[2:3]
	v_mul_f64 v[2:3], v[2:3], s[2:3]
	v_add_co_u32 v4, vcc_lo, v12, s6
	v_add_co_ci_u32_e32 v5, vcc_lo, s7, v13, vcc_lo
	s_delay_alu instid0(VALU_DEP_2) | instskip(NEXT) | instid1(VALU_DEP_2)
	v_add_co_u32 v12, vcc_lo, v4, s6
	v_add_co_ci_u32_e32 v13, vcc_lo, s7, v5, vcc_lo
	global_store_b128 v[4:5], v[0:3], off
	s_waitcnt vmcnt(0)
	global_load_b128 v[0:3], v[16:17], off offset:832
	s_waitcnt vmcnt(0) lgkmcnt(0)
	v_mul_f64 v[6:7], v[10:11], v[2:3]
	v_mul_f64 v[2:3], v[8:9], v[2:3]
	s_delay_alu instid0(VALU_DEP_2) | instskip(NEXT) | instid1(VALU_DEP_2)
	v_fma_f64 v[6:7], v[8:9], v[0:1], v[6:7]
	v_fma_f64 v[2:3], v[0:1], v[10:11], -v[2:3]
	s_delay_alu instid0(VALU_DEP_2) | instskip(NEXT) | instid1(VALU_DEP_2)
	v_mul_f64 v[0:1], v[6:7], s[2:3]
	v_mul_f64 v[2:3], v[2:3], s[2:3]
	global_store_b128 v[12:13], v[0:3], off
	global_load_b128 v[0:3], v[16:17], off offset:2032
	ds_load_b128 v[4:7], v160 offset:10224
	ds_load_b128 v[8:11], v160 offset:11424
	s_waitcnt vmcnt(0) lgkmcnt(1)
	v_mul_f64 v[14:15], v[6:7], v[2:3]
	v_mul_f64 v[2:3], v[4:5], v[2:3]
	s_delay_alu instid0(VALU_DEP_2) | instskip(NEXT) | instid1(VALU_DEP_2)
	v_fma_f64 v[4:5], v[4:5], v[0:1], v[14:15]
	v_fma_f64 v[2:3], v[0:1], v[6:7], -v[2:3]
	s_delay_alu instid0(VALU_DEP_2) | instskip(NEXT) | instid1(VALU_DEP_2)
	v_mul_f64 v[0:1], v[4:5], s[2:3]
	v_mul_f64 v[2:3], v[2:3], s[2:3]
	v_add_co_u32 v4, vcc_lo, v12, s6
	v_add_co_ci_u32_e32 v5, vcc_lo, s7, v13, vcc_lo
	s_delay_alu instid0(VALU_DEP_2) | instskip(NEXT) | instid1(VALU_DEP_2)
	v_add_co_u32 v12, vcc_lo, v4, s6
	v_add_co_ci_u32_e32 v13, vcc_lo, s7, v5, vcc_lo
	global_store_b128 v[4:5], v[0:3], off
	global_load_b128 v[0:3], v[16:17], off offset:3232
	scratch_load_b64 v[16:17], off, off offset:8 ; 8-byte Folded Reload
	s_waitcnt vmcnt(1) lgkmcnt(0)
	v_mul_f64 v[6:7], v[10:11], v[2:3]
	v_mul_f64 v[2:3], v[8:9], v[2:3]
	s_delay_alu instid0(VALU_DEP_2) | instskip(NEXT) | instid1(VALU_DEP_2)
	v_fma_f64 v[6:7], v[8:9], v[0:1], v[6:7]
	v_fma_f64 v[2:3], v[0:1], v[10:11], -v[2:3]
	s_delay_alu instid0(VALU_DEP_2) | instskip(NEXT) | instid1(VALU_DEP_2)
	v_mul_f64 v[0:1], v[6:7], s[2:3]
	v_mul_f64 v[2:3], v[2:3], s[2:3]
	global_store_b128 v[12:13], v[0:3], off
	s_waitcnt vmcnt(0)
	global_load_b128 v[0:3], v[16:17], off offset:336
	ds_load_b128 v[4:7], v160 offset:12624
	ds_load_b128 v[8:11], v160 offset:13824
	s_waitcnt vmcnt(0) lgkmcnt(1)
	v_mul_f64 v[14:15], v[6:7], v[2:3]
	v_mul_f64 v[2:3], v[4:5], v[2:3]
	s_delay_alu instid0(VALU_DEP_2) | instskip(NEXT) | instid1(VALU_DEP_2)
	v_fma_f64 v[4:5], v[4:5], v[0:1], v[14:15]
	v_fma_f64 v[2:3], v[0:1], v[6:7], -v[2:3]
	s_delay_alu instid0(VALU_DEP_2) | instskip(NEXT) | instid1(VALU_DEP_2)
	v_mul_f64 v[0:1], v[4:5], s[2:3]
	v_mul_f64 v[2:3], v[2:3], s[2:3]
	v_add_co_u32 v4, vcc_lo, v12, s6
	v_add_co_ci_u32_e32 v5, vcc_lo, s7, v13, vcc_lo
	global_store_b128 v[4:5], v[0:3], off
	global_load_b128 v[0:3], v[16:17], off offset:1536
	s_waitcnt vmcnt(0) lgkmcnt(0)
	v_mul_f64 v[6:7], v[10:11], v[2:3]
	v_mul_f64 v[2:3], v[8:9], v[2:3]
	s_delay_alu instid0(VALU_DEP_2) | instskip(NEXT) | instid1(VALU_DEP_2)
	v_fma_f64 v[6:7], v[8:9], v[0:1], v[6:7]
	v_fma_f64 v[2:3], v[0:1], v[10:11], -v[2:3]
	v_add_co_u32 v8, vcc_lo, v4, s6
	v_add_co_ci_u32_e32 v9, vcc_lo, s7, v5, vcc_lo
	s_delay_alu instid0(VALU_DEP_4) | instskip(NEXT) | instid1(VALU_DEP_4)
	v_mul_f64 v[0:1], v[6:7], s[2:3]
	v_mul_f64 v[2:3], v[2:3], s[2:3]
	ds_load_b128 v[4:7], v160 offset:15024
	global_store_b128 v[8:9], v[0:3], off
	global_load_b128 v[0:3], v[16:17], off offset:2736
	s_waitcnt vmcnt(0) lgkmcnt(0)
	v_mul_f64 v[10:11], v[6:7], v[2:3]
	v_mul_f64 v[2:3], v[4:5], v[2:3]
	s_delay_alu instid0(VALU_DEP_2) | instskip(NEXT) | instid1(VALU_DEP_2)
	v_fma_f64 v[4:5], v[4:5], v[0:1], v[10:11]
	v_fma_f64 v[2:3], v[0:1], v[6:7], -v[2:3]
	s_delay_alu instid0(VALU_DEP_2) | instskip(NEXT) | instid1(VALU_DEP_2)
	v_mul_f64 v[0:1], v[4:5], s[2:3]
	v_mul_f64 v[2:3], v[2:3], s[2:3]
	v_add_co_u32 v4, vcc_lo, v8, s6
	v_add_co_ci_u32_e32 v5, vcc_lo, s7, v9, vcc_lo
	global_store_b128 v[4:5], v[0:3], off
.LBB0_23:
	s_nop 0
	s_sendmsg sendmsg(MSG_DEALLOC_VGPRS)
	s_endpgm
	.section	.rodata,"a",@progbits
	.p2align	6, 0x0
	.amdhsa_kernel bluestein_single_fwd_len975_dim1_dp_op_CI_CI
		.amdhsa_group_segment_fixed_size 46800
		.amdhsa_private_segment_fixed_size 1252
		.amdhsa_kernarg_size 104
		.amdhsa_user_sgpr_count 15
		.amdhsa_user_sgpr_dispatch_ptr 0
		.amdhsa_user_sgpr_queue_ptr 0
		.amdhsa_user_sgpr_kernarg_segment_ptr 1
		.amdhsa_user_sgpr_dispatch_id 0
		.amdhsa_user_sgpr_private_segment_size 0
		.amdhsa_wavefront_size32 1
		.amdhsa_uses_dynamic_stack 0
		.amdhsa_enable_private_segment 1
		.amdhsa_system_sgpr_workgroup_id_x 1
		.amdhsa_system_sgpr_workgroup_id_y 0
		.amdhsa_system_sgpr_workgroup_id_z 0
		.amdhsa_system_sgpr_workgroup_info 0
		.amdhsa_system_vgpr_workitem_id 0
		.amdhsa_next_free_vgpr 256
		.amdhsa_next_free_sgpr 46
		.amdhsa_reserve_vcc 1
		.amdhsa_float_round_mode_32 0
		.amdhsa_float_round_mode_16_64 0
		.amdhsa_float_denorm_mode_32 3
		.amdhsa_float_denorm_mode_16_64 3
		.amdhsa_dx10_clamp 1
		.amdhsa_ieee_mode 1
		.amdhsa_fp16_overflow 0
		.amdhsa_workgroup_processor_mode 1
		.amdhsa_memory_ordered 1
		.amdhsa_forward_progress 0
		.amdhsa_shared_vgpr_count 0
		.amdhsa_exception_fp_ieee_invalid_op 0
		.amdhsa_exception_fp_denorm_src 0
		.amdhsa_exception_fp_ieee_div_zero 0
		.amdhsa_exception_fp_ieee_overflow 0
		.amdhsa_exception_fp_ieee_underflow 0
		.amdhsa_exception_fp_ieee_inexact 0
		.amdhsa_exception_int_div_zero 0
	.end_amdhsa_kernel
	.text
.Lfunc_end0:
	.size	bluestein_single_fwd_len975_dim1_dp_op_CI_CI, .Lfunc_end0-bluestein_single_fwd_len975_dim1_dp_op_CI_CI
                                        ; -- End function
	.section	.AMDGPU.csdata,"",@progbits
; Kernel info:
; codeLenInByte = 45408
; NumSgprs: 48
; NumVgprs: 256
; ScratchSize: 1252
; MemoryBound: 0
; FloatMode: 240
; IeeeMode: 1
; LDSByteSize: 46800 bytes/workgroup (compile time only)
; SGPRBlocks: 5
; VGPRBlocks: 31
; NumSGPRsForWavesPerEU: 48
; NumVGPRsForWavesPerEU: 256
; Occupancy: 2
; WaveLimiterHint : 1
; COMPUTE_PGM_RSRC2:SCRATCH_EN: 1
; COMPUTE_PGM_RSRC2:USER_SGPR: 15
; COMPUTE_PGM_RSRC2:TRAP_HANDLER: 0
; COMPUTE_PGM_RSRC2:TGID_X_EN: 1
; COMPUTE_PGM_RSRC2:TGID_Y_EN: 0
; COMPUTE_PGM_RSRC2:TGID_Z_EN: 0
; COMPUTE_PGM_RSRC2:TIDIG_COMP_CNT: 0
	.text
	.p2alignl 7, 3214868480
	.fill 96, 4, 3214868480
	.type	__hip_cuid_2fbe680a67a40b9f,@object ; @__hip_cuid_2fbe680a67a40b9f
	.section	.bss,"aw",@nobits
	.globl	__hip_cuid_2fbe680a67a40b9f
__hip_cuid_2fbe680a67a40b9f:
	.byte	0                               ; 0x0
	.size	__hip_cuid_2fbe680a67a40b9f, 1

	.ident	"AMD clang version 19.0.0git (https://github.com/RadeonOpenCompute/llvm-project roc-6.4.0 25133 c7fe45cf4b819c5991fe208aaa96edf142730f1d)"
	.section	".note.GNU-stack","",@progbits
	.addrsig
	.addrsig_sym __hip_cuid_2fbe680a67a40b9f
	.amdgpu_metadata
---
amdhsa.kernels:
  - .args:
      - .actual_access:  read_only
        .address_space:  global
        .offset:         0
        .size:           8
        .value_kind:     global_buffer
      - .actual_access:  read_only
        .address_space:  global
        .offset:         8
        .size:           8
        .value_kind:     global_buffer
      - .actual_access:  read_only
        .address_space:  global
        .offset:         16
        .size:           8
        .value_kind:     global_buffer
      - .actual_access:  read_only
        .address_space:  global
        .offset:         24
        .size:           8
        .value_kind:     global_buffer
      - .actual_access:  read_only
        .address_space:  global
        .offset:         32
        .size:           8
        .value_kind:     global_buffer
      - .offset:         40
        .size:           8
        .value_kind:     by_value
      - .address_space:  global
        .offset:         48
        .size:           8
        .value_kind:     global_buffer
      - .address_space:  global
        .offset:         56
        .size:           8
        .value_kind:     global_buffer
      - .address_space:  global
        .offset:         64
        .size:           8
        .value_kind:     global_buffer
      - .address_space:  global
        .offset:         72
        .size:           8
        .value_kind:     global_buffer
      - .offset:         80
        .size:           4
        .value_kind:     by_value
      - .address_space:  global
        .offset:         88
        .size:           8
        .value_kind:     global_buffer
      - .address_space:  global
        .offset:         96
        .size:           8
        .value_kind:     global_buffer
    .group_segment_fixed_size: 46800
    .kernarg_segment_align: 8
    .kernarg_segment_size: 104
    .language:       OpenCL C
    .language_version:
      - 2
      - 0
    .max_flat_workgroup_size: 117
    .name:           bluestein_single_fwd_len975_dim1_dp_op_CI_CI
    .private_segment_fixed_size: 1252
    .sgpr_count:     48
    .sgpr_spill_count: 0
    .symbol:         bluestein_single_fwd_len975_dim1_dp_op_CI_CI.kd
    .uniform_work_group_size: 1
    .uses_dynamic_stack: false
    .vgpr_count:     256
    .vgpr_spill_count: 322
    .wavefront_size: 32
    .workgroup_processor_mode: 1
amdhsa.target:   amdgcn-amd-amdhsa--gfx1100
amdhsa.version:
  - 1
  - 2
...

	.end_amdgpu_metadata
